;; amdgpu-corpus repo=ROCm/rocFFT kind=compiled arch=gfx1201 opt=O3
	.text
	.amdgcn_target "amdgcn-amd-amdhsa--gfx1201"
	.amdhsa_code_object_version 6
	.protected	fft_rtc_back_len3240_factors_3_3_10_6_6_wgs_108_tpt_108_halfLds_sp_ip_CI_sbrr_dirReg ; -- Begin function fft_rtc_back_len3240_factors_3_3_10_6_6_wgs_108_tpt_108_halfLds_sp_ip_CI_sbrr_dirReg
	.globl	fft_rtc_back_len3240_factors_3_3_10_6_6_wgs_108_tpt_108_halfLds_sp_ip_CI_sbrr_dirReg
	.p2align	8
	.type	fft_rtc_back_len3240_factors_3_3_10_6_6_wgs_108_tpt_108_halfLds_sp_ip_CI_sbrr_dirReg,@function
fft_rtc_back_len3240_factors_3_3_10_6_6_wgs_108_tpt_108_halfLds_sp_ip_CI_sbrr_dirReg: ; @fft_rtc_back_len3240_factors_3_3_10_6_6_wgs_108_tpt_108_halfLds_sp_ip_CI_sbrr_dirReg
; %bb.0:
	s_clause 0x2
	s_load_b64 s[12:13], s[0:1], 0x18
	s_load_b128 s[4:7], s[0:1], 0x0
	s_load_b64 s[10:11], s[0:1], 0x50
	v_mul_u32_u24_e32 v1, 0x25f, v0
	v_mov_b32_e32 v3, 0
	s_delay_alu instid0(VALU_DEP_2) | instskip(NEXT) | instid1(VALU_DEP_1)
	v_lshrrev_b32_e32 v1, 16, v1
	v_add_nc_u32_e32 v5, ttmp9, v1
	v_mov_b32_e32 v1, 0
	v_mov_b32_e32 v2, 0
	;; [unrolled: 1-line block ×3, first 2 shown]
	s_wait_kmcnt 0x0
	s_load_b64 s[8:9], s[12:13], 0x0
	v_cmp_lt_u64_e64 s2, s[6:7], 2
	s_delay_alu instid0(VALU_DEP_1)
	s_and_b32 vcc_lo, exec_lo, s2
	s_cbranch_vccnz .LBB0_8
; %bb.1:
	s_load_b64 s[2:3], s[0:1], 0x10
	v_mov_b32_e32 v1, 0
	v_mov_b32_e32 v2, 0
	s_add_nc_u64 s[14:15], s[12:13], 8
	s_mov_b64 s[16:17], 1
	s_wait_kmcnt 0x0
	s_add_nc_u64 s[18:19], s[2:3], 8
	s_mov_b32 s3, 0
.LBB0_2:                                ; =>This Inner Loop Header: Depth=1
	s_load_b64 s[20:21], s[18:19], 0x0
                                        ; implicit-def: $vgpr7_vgpr8
	s_mov_b32 s2, exec_lo
	s_wait_kmcnt 0x0
	v_or_b32_e32 v4, s21, v6
	s_delay_alu instid0(VALU_DEP_1)
	v_cmpx_ne_u64_e32 0, v[3:4]
	s_wait_alu 0xfffe
	s_xor_b32 s22, exec_lo, s2
	s_cbranch_execz .LBB0_4
; %bb.3:                                ;   in Loop: Header=BB0_2 Depth=1
	s_cvt_f32_u32 s2, s20
	s_cvt_f32_u32 s23, s21
	s_sub_nc_u64 s[26:27], 0, s[20:21]
	s_wait_alu 0xfffe
	s_delay_alu instid0(SALU_CYCLE_1) | instskip(SKIP_1) | instid1(SALU_CYCLE_2)
	s_fmamk_f32 s2, s23, 0x4f800000, s2
	s_wait_alu 0xfffe
	v_s_rcp_f32 s2, s2
	s_delay_alu instid0(TRANS32_DEP_1) | instskip(SKIP_1) | instid1(SALU_CYCLE_2)
	s_mul_f32 s2, s2, 0x5f7ffffc
	s_wait_alu 0xfffe
	s_mul_f32 s23, s2, 0x2f800000
	s_wait_alu 0xfffe
	s_delay_alu instid0(SALU_CYCLE_2) | instskip(SKIP_1) | instid1(SALU_CYCLE_2)
	s_trunc_f32 s23, s23
	s_wait_alu 0xfffe
	s_fmamk_f32 s2, s23, 0xcf800000, s2
	s_cvt_u32_f32 s25, s23
	s_wait_alu 0xfffe
	s_delay_alu instid0(SALU_CYCLE_1) | instskip(SKIP_1) | instid1(SALU_CYCLE_2)
	s_cvt_u32_f32 s24, s2
	s_wait_alu 0xfffe
	s_mul_u64 s[28:29], s[26:27], s[24:25]
	s_wait_alu 0xfffe
	s_mul_hi_u32 s31, s24, s29
	s_mul_i32 s30, s24, s29
	s_mul_hi_u32 s2, s24, s28
	s_mul_i32 s33, s25, s28
	s_wait_alu 0xfffe
	s_add_nc_u64 s[30:31], s[2:3], s[30:31]
	s_mul_hi_u32 s23, s25, s28
	s_mul_hi_u32 s34, s25, s29
	s_add_co_u32 s2, s30, s33
	s_wait_alu 0xfffe
	s_add_co_ci_u32 s2, s31, s23
	s_mul_i32 s28, s25, s29
	s_add_co_ci_u32 s29, s34, 0
	s_wait_alu 0xfffe
	s_add_nc_u64 s[28:29], s[2:3], s[28:29]
	s_wait_alu 0xfffe
	v_add_co_u32 v4, s2, s24, s28
	s_delay_alu instid0(VALU_DEP_1) | instskip(SKIP_1) | instid1(VALU_DEP_1)
	s_cmp_lg_u32 s2, 0
	s_add_co_ci_u32 s25, s25, s29
	v_readfirstlane_b32 s24, v4
	s_wait_alu 0xfffe
	s_delay_alu instid0(VALU_DEP_1)
	s_mul_u64 s[26:27], s[26:27], s[24:25]
	s_wait_alu 0xfffe
	s_mul_hi_u32 s29, s24, s27
	s_mul_i32 s28, s24, s27
	s_mul_hi_u32 s2, s24, s26
	s_mul_i32 s30, s25, s26
	s_wait_alu 0xfffe
	s_add_nc_u64 s[28:29], s[2:3], s[28:29]
	s_mul_hi_u32 s23, s25, s26
	s_mul_hi_u32 s24, s25, s27
	s_wait_alu 0xfffe
	s_add_co_u32 s2, s28, s30
	s_add_co_ci_u32 s2, s29, s23
	s_mul_i32 s26, s25, s27
	s_add_co_ci_u32 s27, s24, 0
	s_wait_alu 0xfffe
	s_add_nc_u64 s[26:27], s[2:3], s[26:27]
	s_wait_alu 0xfffe
	v_add_co_u32 v4, s2, v4, s26
	s_delay_alu instid0(VALU_DEP_1) | instskip(SKIP_1) | instid1(VALU_DEP_1)
	s_cmp_lg_u32 s2, 0
	s_add_co_ci_u32 s2, s25, s27
	v_mul_hi_u32 v13, v5, v4
	s_wait_alu 0xfffe
	v_mad_co_u64_u32 v[7:8], null, v5, s2, 0
	v_mad_co_u64_u32 v[9:10], null, v6, v4, 0
	;; [unrolled: 1-line block ×3, first 2 shown]
	s_delay_alu instid0(VALU_DEP_3) | instskip(SKIP_1) | instid1(VALU_DEP_4)
	v_add_co_u32 v4, vcc_lo, v13, v7
	s_wait_alu 0xfffd
	v_add_co_ci_u32_e32 v7, vcc_lo, 0, v8, vcc_lo
	s_delay_alu instid0(VALU_DEP_2) | instskip(SKIP_1) | instid1(VALU_DEP_2)
	v_add_co_u32 v4, vcc_lo, v4, v9
	s_wait_alu 0xfffd
	v_add_co_ci_u32_e32 v4, vcc_lo, v7, v10, vcc_lo
	s_wait_alu 0xfffd
	v_add_co_ci_u32_e32 v7, vcc_lo, 0, v12, vcc_lo
	s_delay_alu instid0(VALU_DEP_2) | instskip(SKIP_1) | instid1(VALU_DEP_2)
	v_add_co_u32 v4, vcc_lo, v4, v11
	s_wait_alu 0xfffd
	v_add_co_ci_u32_e32 v9, vcc_lo, 0, v7, vcc_lo
	s_delay_alu instid0(VALU_DEP_2) | instskip(SKIP_1) | instid1(VALU_DEP_3)
	v_mul_lo_u32 v10, s21, v4
	v_mad_co_u64_u32 v[7:8], null, s20, v4, 0
	v_mul_lo_u32 v11, s20, v9
	s_delay_alu instid0(VALU_DEP_2) | instskip(NEXT) | instid1(VALU_DEP_2)
	v_sub_co_u32 v7, vcc_lo, v5, v7
	v_add3_u32 v8, v8, v11, v10
	s_delay_alu instid0(VALU_DEP_1) | instskip(SKIP_1) | instid1(VALU_DEP_1)
	v_sub_nc_u32_e32 v10, v6, v8
	s_wait_alu 0xfffd
	v_subrev_co_ci_u32_e64 v10, s2, s21, v10, vcc_lo
	v_add_co_u32 v11, s2, v4, 2
	s_wait_alu 0xf1ff
	v_add_co_ci_u32_e64 v12, s2, 0, v9, s2
	v_sub_co_u32 v13, s2, v7, s20
	v_sub_co_ci_u32_e32 v8, vcc_lo, v6, v8, vcc_lo
	s_wait_alu 0xf1ff
	v_subrev_co_ci_u32_e64 v10, s2, 0, v10, s2
	s_delay_alu instid0(VALU_DEP_3) | instskip(NEXT) | instid1(VALU_DEP_3)
	v_cmp_le_u32_e32 vcc_lo, s20, v13
	v_cmp_eq_u32_e64 s2, s21, v8
	s_wait_alu 0xfffd
	v_cndmask_b32_e64 v13, 0, -1, vcc_lo
	v_cmp_le_u32_e32 vcc_lo, s21, v10
	s_wait_alu 0xfffd
	v_cndmask_b32_e64 v14, 0, -1, vcc_lo
	v_cmp_le_u32_e32 vcc_lo, s20, v7
	;; [unrolled: 3-line block ×3, first 2 shown]
	s_wait_alu 0xfffd
	v_cndmask_b32_e64 v15, 0, -1, vcc_lo
	v_cmp_eq_u32_e32 vcc_lo, s21, v10
	s_wait_alu 0xf1ff
	s_delay_alu instid0(VALU_DEP_2)
	v_cndmask_b32_e64 v7, v15, v7, s2
	s_wait_alu 0xfffd
	v_cndmask_b32_e32 v10, v14, v13, vcc_lo
	v_add_co_u32 v13, vcc_lo, v4, 1
	s_wait_alu 0xfffd
	v_add_co_ci_u32_e32 v14, vcc_lo, 0, v9, vcc_lo
	s_delay_alu instid0(VALU_DEP_3) | instskip(SKIP_2) | instid1(VALU_DEP_3)
	v_cmp_ne_u32_e32 vcc_lo, 0, v10
	s_wait_alu 0xfffd
	v_cndmask_b32_e32 v10, v13, v11, vcc_lo
	v_cndmask_b32_e32 v8, v14, v12, vcc_lo
	v_cmp_ne_u32_e32 vcc_lo, 0, v7
	s_wait_alu 0xfffd
	s_delay_alu instid0(VALU_DEP_2)
	v_dual_cndmask_b32 v7, v4, v10 :: v_dual_cndmask_b32 v8, v9, v8
.LBB0_4:                                ;   in Loop: Header=BB0_2 Depth=1
	s_wait_alu 0xfffe
	s_and_not1_saveexec_b32 s2, s22
	s_cbranch_execz .LBB0_6
; %bb.5:                                ;   in Loop: Header=BB0_2 Depth=1
	v_cvt_f32_u32_e32 v4, s20
	s_sub_co_i32 s22, 0, s20
	s_delay_alu instid0(VALU_DEP_1) | instskip(NEXT) | instid1(TRANS32_DEP_1)
	v_rcp_iflag_f32_e32 v4, v4
	v_mul_f32_e32 v4, 0x4f7ffffe, v4
	s_delay_alu instid0(VALU_DEP_1) | instskip(SKIP_1) | instid1(VALU_DEP_1)
	v_cvt_u32_f32_e32 v4, v4
	s_wait_alu 0xfffe
	v_mul_lo_u32 v7, s22, v4
	s_delay_alu instid0(VALU_DEP_1) | instskip(NEXT) | instid1(VALU_DEP_1)
	v_mul_hi_u32 v7, v4, v7
	v_add_nc_u32_e32 v4, v4, v7
	s_delay_alu instid0(VALU_DEP_1) | instskip(NEXT) | instid1(VALU_DEP_1)
	v_mul_hi_u32 v4, v5, v4
	v_mul_lo_u32 v7, v4, s20
	v_add_nc_u32_e32 v8, 1, v4
	s_delay_alu instid0(VALU_DEP_2) | instskip(NEXT) | instid1(VALU_DEP_1)
	v_sub_nc_u32_e32 v7, v5, v7
	v_subrev_nc_u32_e32 v9, s20, v7
	v_cmp_le_u32_e32 vcc_lo, s20, v7
	s_wait_alu 0xfffd
	s_delay_alu instid0(VALU_DEP_2) | instskip(NEXT) | instid1(VALU_DEP_1)
	v_dual_cndmask_b32 v7, v7, v9 :: v_dual_cndmask_b32 v4, v4, v8
	v_cmp_le_u32_e32 vcc_lo, s20, v7
	s_delay_alu instid0(VALU_DEP_2) | instskip(SKIP_1) | instid1(VALU_DEP_1)
	v_add_nc_u32_e32 v8, 1, v4
	s_wait_alu 0xfffd
	v_dual_cndmask_b32 v7, v4, v8 :: v_dual_mov_b32 v8, v3
.LBB0_6:                                ;   in Loop: Header=BB0_2 Depth=1
	s_wait_alu 0xfffe
	s_or_b32 exec_lo, exec_lo, s2
	s_load_b64 s[22:23], s[14:15], 0x0
	s_delay_alu instid0(VALU_DEP_1)
	v_mul_lo_u32 v4, v8, s20
	v_mul_lo_u32 v11, v7, s21
	v_mad_co_u64_u32 v[9:10], null, v7, s20, 0
	s_add_nc_u64 s[16:17], s[16:17], 1
	s_add_nc_u64 s[14:15], s[14:15], 8
	s_wait_alu 0xfffe
	v_cmp_ge_u64_e64 s2, s[16:17], s[6:7]
	s_add_nc_u64 s[18:19], s[18:19], 8
	s_delay_alu instid0(VALU_DEP_2) | instskip(NEXT) | instid1(VALU_DEP_3)
	v_add3_u32 v4, v10, v11, v4
	v_sub_co_u32 v5, vcc_lo, v5, v9
	s_wait_alu 0xfffd
	s_delay_alu instid0(VALU_DEP_2) | instskip(SKIP_3) | instid1(VALU_DEP_2)
	v_sub_co_ci_u32_e32 v4, vcc_lo, v6, v4, vcc_lo
	s_and_b32 vcc_lo, exec_lo, s2
	s_wait_kmcnt 0x0
	v_mul_lo_u32 v6, s23, v5
	v_mul_lo_u32 v4, s22, v4
	v_mad_co_u64_u32 v[1:2], null, s22, v5, v[1:2]
	s_delay_alu instid0(VALU_DEP_1)
	v_add3_u32 v2, v6, v2, v4
	s_wait_alu 0xfffe
	s_cbranch_vccnz .LBB0_9
; %bb.7:                                ;   in Loop: Header=BB0_2 Depth=1
	v_dual_mov_b32 v5, v7 :: v_dual_mov_b32 v6, v8
	s_branch .LBB0_2
.LBB0_8:
	v_dual_mov_b32 v8, v6 :: v_dual_mov_b32 v7, v5
.LBB0_9:
	s_lshl_b64 s[2:3], s[6:7], 3
	v_mul_hi_u32 v3, 0x25ed098, v0
	s_wait_alu 0xfffe
	s_add_nc_u64 s[2:3], s[12:13], s[2:3]
	s_load_b64 s[0:1], s[0:1], 0x20
	s_load_b64 s[2:3], s[2:3], 0x0
                                        ; implicit-def: $vgpr101
                                        ; implicit-def: $vgpr102
                                        ; implicit-def: $vgpr103
                                        ; implicit-def: $vgpr104
                                        ; implicit-def: $vgpr131
                                        ; implicit-def: $vgpr130
                                        ; implicit-def: $vgpr129
                                        ; implicit-def: $vgpr128
	s_delay_alu instid0(VALU_DEP_1) | instskip(NEXT) | instid1(VALU_DEP_1)
	v_mul_u32_u24_e32 v3, 0x6c, v3
	v_sub_nc_u32_e32 v98, v0, v3
	s_delay_alu instid0(VALU_DEP_1)
	v_add_nc_u32_e32 v92, 0x6c, v98
	v_add_nc_u32_e32 v86, 0xd8, v98
	;; [unrolled: 1-line block ×4, first 2 shown]
	s_wait_kmcnt 0x0
	v_cmp_gt_u64_e32 vcc_lo, s[0:1], v[7:8]
	v_mul_lo_u32 v3, s2, v8
	v_mul_lo_u32 v4, s3, v7
	v_mad_co_u64_u32 v[0:1], null, s2, v7, v[1:2]
	v_cmp_le_u64_e64 s0, s[0:1], v[7:8]
	v_add_nc_u32_e32 v95, 0x21c, v98
	v_add_nc_u32_e32 v89, 0x288, v98
	;; [unrolled: 1-line block ×5, first 2 shown]
	v_add3_u32 v1, v4, v1, v3
	s_and_saveexec_b32 s1, s0
	s_wait_alu 0xfffe
	s_xor_b32 s0, exec_lo, s1
; %bb.10:
	v_add_nc_u32_e32 v101, 0x6c, v98
	v_add_nc_u32_e32 v102, 0xd8, v98
	v_add_nc_u32_e32 v103, 0x144, v98
	v_add_nc_u32_e32 v104, 0x1b0, v98
	v_add_nc_u32_e32 v131, 0x21c, v98
	v_add_nc_u32_e32 v130, 0x288, v98
	v_add_nc_u32_e32 v129, 0x2f4, v98
	v_add_nc_u32_e32 v128, 0x360, v98
	v_add_nc_u32_e32 v125, 0x3cc, v98
; %bb.11:
	s_wait_alu 0xfffe
	s_or_saveexec_b32 s1, s0
	v_lshlrev_b64_e32 v[0:1], 3, v[0:1]
	v_add_nc_u32_e32 v99, 0x438, v98
	v_add_nc_u32_e32 v96, 0x870, v98
	v_add_nc_u32_e32 v93, 0x4a4, v98
	v_add_nc_u32_e32 v90, 0x8dc, v98
	v_add_nc_u32_e32 v88, 0x510, v98
	v_add_nc_u32_e32 v83, 0x948, v98
	v_add_nc_u32_e32 v82, 0x57c, v98
	v_add_nc_u32_e32 v77, 0x9b4, v98
	v_add_nc_u32_e32 v100, 0x654, v98
	v_add_nc_u32_e32 v97, 0xa8c, v98
	v_add_nc_u32_e32 v94, 0x6c0, v98
	v_add_nc_u32_e32 v91, 0xaf8, v98
	v_add_nc_u32_e32 v87, 0x72c, v98
	v_add_nc_u32_e32 v85, 0xb64, v98
	v_add_nc_u32_e32 v81, 0x798, v98
	v_add_nc_u32_e32 v78, 0xbd0, v98
                                        ; implicit-def: $vgpr18
                                        ; implicit-def: $vgpr22
                                        ; implicit-def: $vgpr4
                                        ; implicit-def: $vgpr32
                                        ; implicit-def: $vgpr36
                                        ; implicit-def: $vgpr6
                                        ; implicit-def: $vgpr24
                                        ; implicit-def: $vgpr26
                                        ; implicit-def: $vgpr8
                                        ; implicit-def: $vgpr28
                                        ; implicit-def: $vgpr34
                                        ; implicit-def: $vgpr10
                                        ; implicit-def: $vgpr40
                                        ; implicit-def: $vgpr42
                                        ; implicit-def: $vgpr12
                                        ; implicit-def: $vgpr44
                                        ; implicit-def: $vgpr46
                                        ; implicit-def: $vgpr14
                                        ; implicit-def: $vgpr48
                                        ; implicit-def: $vgpr50
                                        ; implicit-def: $vgpr16
                                        ; implicit-def: $vgpr61
                                        ; implicit-def: $vgpr67
                                        ; implicit-def: $vgpr52
                                        ; implicit-def: $vgpr63
                                        ; implicit-def: $vgpr69
                                        ; implicit-def: $vgpr57
                                        ; implicit-def: $vgpr20
                                        ; implicit-def: $vgpr30
                                        ; implicit-def: $vgpr59
	s_wait_alu 0xfffe
	s_xor_b32 exec_lo, exec_lo, s1
	s_cbranch_execz .LBB0_13
; %bb.12:
	v_mad_co_u64_u32 v[4:5], null, s8, v98, 0
	v_mad_co_u64_u32 v[6:7], null, s8, v99, 0
	;; [unrolled: 1-line block ×4, first 2 shown]
	s_delay_alu instid0(VALU_DEP_4) | instskip(SKIP_4) | instid1(VALU_DEP_3)
	v_mov_b32_e32 v2, v5
	v_mad_co_u64_u32 v[109:110], null, s8, v125, 0
	v_dual_mov_b32 v3, v7 :: v_dual_add_nc_u32 v30, 0xa20, v98
	v_mov_b32_e32 v128, v79
	v_dual_mov_b32 v130, v89 :: v_dual_mov_b32 v129, v84
	v_mad_co_u64_u32 v[10:11], null, s9, v98, v[2:3]
	v_mad_co_u64_u32 v[11:12], null, s8, v92, 0
	;; [unrolled: 1-line block ×3, first 2 shown]
	v_dual_mov_b32 v2, v9 :: v_dual_mov_b32 v131, v95
	s_delay_alu instid0(VALU_DEP_3) | instskip(NEXT) | instid1(VALU_DEP_2)
	v_dual_mov_b32 v5, v10 :: v_dual_mov_b32 v10, v12
	v_mad_co_u64_u32 v[14:15], null, s9, v96, v[2:3]
	s_delay_alu instid0(VALU_DEP_4) | instskip(SKIP_1) | instid1(VALU_DEP_4)
	v_mov_b32_e32 v7, v13
	v_mad_co_u64_u32 v[15:16], null, s8, v93, 0
	v_mad_co_u64_u32 v[12:13], null, s9, v92, v[10:11]
	v_lshlrev_b64_e32 v[4:5], 3, v[4:5]
	v_mov_b32_e32 v9, v14
	v_mad_co_u64_u32 v[13:14], null, s8, v90, 0
	v_mov_b32_e32 v10, v16
	v_add_co_u32 v2, s0, s10, v0
	s_wait_alu 0xf1ff
	v_add_co_ci_u32_e64 v3, s0, s11, v1, s0
	s_delay_alu instid0(VALU_DEP_3)
	v_mad_co_u64_u32 v[16:17], null, s9, v93, v[10:11]
	v_lshlrev_b64_e32 v[10:11], 3, v[11:12]
	v_mov_b32_e32 v12, v14
	v_mad_co_u64_u32 v[17:18], null, s8, v86, 0
	v_lshlrev_b64_e32 v[6:7], 3, v[6:7]
	v_add_co_u32 v4, s0, v2, v4
	s_delay_alu instid0(VALU_DEP_4)
	v_mad_co_u64_u32 v[19:20], null, s9, v90, v[12:13]
	v_lshlrev_b64_e32 v[8:9], 3, v[8:9]
	v_mad_co_u64_u32 v[20:21], null, s8, v88, 0
	s_wait_alu 0xf1ff
	v_add_co_ci_u32_e64 v5, s0, v3, v5, s0
	v_add_co_u32 v6, s0, v2, v6
	v_mov_b32_e32 v12, v18
	v_mov_b32_e32 v14, v19
	s_wait_alu 0xf1ff
	v_add_co_ci_u32_e64 v7, s0, v3, v7, s0
	v_add_co_u32 v8, s0, v2, v8
	v_lshlrev_b64_e32 v[15:16], 3, v[15:16]
	s_wait_alu 0xf1ff
	v_add_co_ci_u32_e64 v9, s0, v3, v9, s0
	v_mad_co_u64_u32 v[18:19], null, s9, v86, v[12:13]
	v_lshlrev_b64_e32 v[13:14], 3, v[13:14]
	v_add_co_u32 v10, s0, v2, v10
	v_mov_b32_e32 v12, v21
	s_wait_alu 0xf1ff
	v_add_co_ci_u32_e64 v11, s0, v3, v11, s0
	v_add_co_u32 v15, s0, v2, v15
	s_wait_alu 0xf1ff
	v_add_co_ci_u32_e64 v16, s0, v3, v16, s0
	v_mad_co_u64_u32 v[24:25], null, s9, v88, v[12:13]
	v_add_co_u32 v12, s0, v2, v13
	s_wait_alu 0xf1ff
	v_add_co_ci_u32_e64 v13, s0, v3, v14, s0
	v_mov_b32_e32 v14, v23
	v_lshlrev_b64_e32 v[17:18], 3, v[17:18]
	v_mov_b32_e32 v21, v24
	v_mad_co_u64_u32 v[24:25], null, s8, v80, 0
	s_delay_alu instid0(VALU_DEP_4) | instskip(NEXT) | instid1(VALU_DEP_3)
	v_mad_co_u64_u32 v[26:27], null, s9, v83, v[14:15]
	v_lshlrev_b64_e32 v[19:20], 3, v[20:21]
	v_add_co_u32 v17, s0, v2, v17
	v_mad_co_u64_u32 v[27:28], null, s8, v82, 0
	s_wait_alu 0xf1ff
	v_add_co_ci_u32_e64 v18, s0, v3, v18, s0
	v_dual_mov_b32 v23, v26 :: v_dual_mov_b32 v14, v25
	v_add_co_u32 v31, s0, v2, v19
	s_wait_alu 0xf1ff
	v_add_co_ci_u32_e64 v32, s0, v3, v20, s0
	s_delay_alu instid0(VALU_DEP_3) | instskip(SKIP_3) | instid1(VALU_DEP_4)
	v_lshlrev_b64_e32 v[19:20], 3, v[22:23]
	v_mad_co_u64_u32 v[21:22], null, s8, v77, 0
	v_mad_co_u64_u32 v[25:26], null, s9, v80, v[14:15]
	v_mov_b32_e32 v14, v28
	v_add_co_u32 v33, s0, v2, v19
	s_wait_alu 0xf1ff
	v_add_co_ci_u32_e64 v34, s0, v3, v20, s0
	s_delay_alu instid0(VALU_DEP_3) | instskip(SKIP_4) | instid1(VALU_DEP_4)
	v_mad_co_u64_u32 v[28:29], null, s9, v82, v[14:15]
	v_mov_b32_e32 v14, v22
	v_lshlrev_b64_e32 v[19:20], 3, v[24:25]
	v_mad_co_u64_u32 v[23:24], null, s8, v76, 0
	v_add_nc_u32_e32 v29, 0x5e8, v98
	v_mad_co_u64_u32 v[25:26], null, s9, v77, v[14:15]
	s_delay_alu instid0(VALU_DEP_4)
	v_add_co_u32 v35, s0, v2, v19
	s_wait_alu 0xf1ff
	v_add_co_ci_u32_e64 v36, s0, v3, v20, s0
	v_lshlrev_b64_e32 v[19:20], 3, v[27:28]
	v_mov_b32_e32 v14, v24
	v_mov_b32_e32 v22, v25
	v_mad_co_u64_u32 v[25:26], null, s8, v29, 0
	s_delay_alu instid0(VALU_DEP_3)
	v_mad_co_u64_u32 v[27:28], null, s9, v76, v[14:15]
	v_add_co_u32 v37, s0, v2, v19
	s_wait_alu 0xf1ff
	v_add_co_ci_u32_e64 v38, s0, v3, v20, s0
	v_lshlrev_b64_e32 v[19:20], 3, v[21:22]
	v_mad_co_u64_u32 v[21:22], null, s8, v30, 0
	v_mov_b32_e32 v14, v26
	v_mov_b32_e32 v24, v27
	s_delay_alu instid0(VALU_DEP_2)
	v_mad_co_u64_u32 v[26:27], null, s9, v29, v[14:15]
	v_add_co_u32 v27, s0, v2, v19
	v_mov_b32_e32 v14, v22
	s_wait_alu 0xf1ff
	v_add_co_ci_u32_e64 v28, s0, v3, v20, s0
	v_lshlrev_b64_e32 v[19:20], 3, v[23:24]
	v_mad_co_u64_u32 v[23:24], null, s8, v95, 0
	v_mad_co_u64_u32 v[29:30], null, s9, v30, v[14:15]
	s_delay_alu instid0(VALU_DEP_3) | instskip(SKIP_1) | instid1(VALU_DEP_4)
	v_add_co_u32 v39, s0, v2, v19
	s_wait_alu 0xf1ff
	v_add_co_ci_u32_e64 v40, s0, v3, v20, s0
	s_delay_alu instid0(VALU_DEP_4) | instskip(SKIP_3) | instid1(VALU_DEP_4)
	v_mov_b32_e32 v14, v24
	v_lshlrev_b64_e32 v[19:20], 3, v[25:26]
	v_mad_co_u64_u32 v[25:26], null, s8, v100, 0
	v_mov_b32_e32 v22, v29
	v_mad_co_u64_u32 v[41:42], null, s9, v95, v[14:15]
	s_delay_alu instid0(VALU_DEP_4)
	v_add_co_u32 v42, s0, v2, v19
	s_wait_alu 0xf1ff
	v_add_co_ci_u32_e64 v43, s0, v3, v20, s0
	v_lshlrev_b64_e32 v[19:20], 3, v[21:22]
	v_mov_b32_e32 v14, v26
	v_mad_co_u64_u32 v[21:22], null, s8, v97, 0
	v_dual_mov_b32 v24, v41 :: v_dual_add_nc_u32 v41, 0xc3c, v98
	s_delay_alu instid0(VALU_DEP_3) | instskip(SKIP_1) | instid1(VALU_DEP_4)
	v_mad_co_u64_u32 v[29:30], null, s9, v100, v[14:15]
	v_add_co_u32 v53, s0, v2, v19
	v_mov_b32_e32 v14, v22
	s_wait_alu 0xf1ff
	v_add_co_ci_u32_e64 v54, s0, v3, v20, s0
	v_lshlrev_b64_e32 v[19:20], 3, v[23:24]
	v_mad_co_u64_u32 v[23:24], null, s8, v89, 0
	v_mov_b32_e32 v26, v29
	v_mad_co_u64_u32 v[29:30], null, s9, v97, v[14:15]
	s_delay_alu instid0(VALU_DEP_4)
	v_add_co_u32 v64, s0, v2, v19
	s_wait_alu 0xf1ff
	v_add_co_ci_u32_e64 v65, s0, v3, v20, s0
	v_mov_b32_e32 v14, v24
	v_lshlrev_b64_e32 v[19:20], 3, v[25:26]
	v_mad_co_u64_u32 v[25:26], null, s8, v94, 0
	v_mov_b32_e32 v22, v29
	s_delay_alu instid0(VALU_DEP_4) | instskip(NEXT) | instid1(VALU_DEP_4)
	v_mad_co_u64_u32 v[44:45], null, s9, v89, v[14:15]
	v_add_co_u32 v70, s0, v2, v19
	s_wait_alu 0xf1ff
	v_add_co_ci_u32_e64 v71, s0, v3, v20, s0
	v_lshlrev_b64_e32 v[19:20], 3, v[21:22]
	v_mov_b32_e32 v14, v26
	v_mad_co_u64_u32 v[21:22], null, s8, v91, 0
	v_mov_b32_e32 v24, v44
	v_mad_co_u64_u32 v[113:114], null, s8, v41, 0
	s_delay_alu instid0(VALU_DEP_4)
	v_mad_co_u64_u32 v[29:30], null, s9, v94, v[14:15]
	v_add_co_u32 v72, s0, v2, v19
	v_mov_b32_e32 v14, v22
	s_wait_alu 0xf1ff
	v_add_co_ci_u32_e64 v73, s0, v3, v20, s0
	v_lshlrev_b64_e32 v[19:20], 3, v[23:24]
	v_mad_co_u64_u32 v[23:24], null, s8, v84, 0
	v_mov_b32_e32 v26, v29
	v_mad_co_u64_u32 v[29:30], null, s9, v91, v[14:15]
	s_delay_alu instid0(VALU_DEP_4)
	v_add_co_u32 v74, s0, v2, v19
	s_wait_alu 0xf1ff
	v_add_co_ci_u32_e64 v75, s0, v3, v20, s0
	v_lshlrev_b64_e32 v[19:20], 3, v[25:26]
	v_mov_b32_e32 v14, v24
	v_mad_co_u64_u32 v[25:26], null, s8, v87, 0
	v_mov_b32_e32 v22, v29
	s_delay_alu instid0(VALU_DEP_4) | instskip(NEXT) | instid1(VALU_DEP_4)
	v_add_co_u32 v101, s0, v2, v19
	v_mad_co_u64_u32 v[44:45], null, s9, v84, v[14:15]
	s_wait_alu 0xf1ff
	v_add_co_ci_u32_e64 v102, s0, v3, v20, s0
	v_lshlrev_b64_e32 v[19:20], 3, v[21:22]
	v_mad_co_u64_u32 v[21:22], null, s8, v85, 0
	v_mov_b32_e32 v14, v26
	v_mov_b32_e32 v24, v44
	v_mad_co_u64_u32 v[44:45], null, s8, v79, 0
	v_add_co_u32 v103, s0, v2, v19
	s_delay_alu instid0(VALU_DEP_4)
	v_mad_co_u64_u32 v[29:30], null, s9, v87, v[14:15]
	v_mov_b32_e32 v14, v22
	s_wait_alu 0xf1ff
	v_add_co_ci_u32_e64 v104, s0, v3, v20, s0
	v_lshlrev_b64_e32 v[19:20], 3, v[23:24]
	v_mov_b32_e32 v22, v45
	v_mad_co_u64_u32 v[23:24], null, s9, v85, v[14:15]
	v_mov_b32_e32 v26, v29
	v_mad_co_u64_u32 v[29:30], null, s8, v81, 0
	v_add_co_u32 v105, s0, v2, v19
	s_wait_alu 0xf1ff
	v_add_co_ci_u32_e64 v106, s0, v3, v20, s0
	v_mad_co_u64_u32 v[45:46], null, s9, v79, v[22:23]
	v_mad_co_u64_u32 v[46:47], null, s8, v78, 0
	v_mov_b32_e32 v14, v30
	v_lshlrev_b64_e32 v[19:20], 3, v[25:26]
	v_add_nc_u32_e32 v26, 0x804, v98
	v_mov_b32_e32 v22, v23
	v_lshlrev_b64_e32 v[44:45], 3, v[44:45]
	v_mad_co_u64_u32 v[23:24], null, s9, v81, v[14:15]
	v_mov_b32_e32 v14, v47
	v_add_co_u32 v24, s0, v2, v19
	v_mad_co_u64_u32 v[107:108], null, s8, v26, 0
	s_wait_alu 0xf1ff
	v_add_co_ci_u32_e64 v25, s0, v3, v20, s0
	v_lshlrev_b64_e32 v[19:20], 3, v[21:22]
	v_mad_co_u64_u32 v[21:22], null, s9, v78, v[14:15]
	v_mov_b32_e32 v30, v23
	v_mov_b32_e32 v14, v108
	s_delay_alu instid0(VALU_DEP_4)
	v_add_co_u32 v22, s0, v2, v19
	s_wait_alu 0xf1ff
	v_add_co_ci_u32_e64 v23, s0, v3, v20, s0
	v_mov_b32_e32 v47, v21
	v_mov_b32_e32 v21, v110
	v_add_co_u32 v111, s0, v2, v44
	s_wait_alu 0xf1ff
	v_add_co_ci_u32_e64 v112, s0, v3, v45, s0
	v_mad_co_u64_u32 v[44:45], null, s9, v26, v[14:15]
	v_lshlrev_b64_e32 v[19:20], 3, v[29:30]
	v_lshlrev_b64_e32 v[29:30], 3, v[46:47]
	v_mad_co_u64_u32 v[45:46], null, s9, v125, v[21:22]
	v_mov_b32_e32 v14, v114
	s_delay_alu instid0(VALU_DEP_4) | instskip(SKIP_2) | instid1(VALU_DEP_4)
	v_add_co_u32 v115, s0, v2, v19
	s_wait_alu 0xf1ff
	v_add_co_ci_u32_e64 v116, s0, v3, v20, s0
	v_mov_b32_e32 v110, v45
	v_mad_co_u64_u32 v[55:56], null, s9, v41, v[14:15]
	v_add_co_u32 v117, s0, v2, v29
	s_wait_alu 0xf1ff
	v_add_co_ci_u32_e64 v118, s0, v3, v30, s0
	v_mov_b32_e32 v108, v44
	s_clause 0x13
	global_load_b64 v[58:59], v[4:5], off
	global_load_b64 v[29:30], v[6:7], off
	;; [unrolled: 1-line block ×20, first 2 shown]
	v_mov_b32_e32 v101, v92
	v_lshlrev_b64_e32 v[4:5], 3, v[109:110]
	v_mov_b32_e32 v114, v55
	v_lshlrev_b64_e32 v[17:18], 3, v[107:108]
	s_clause 0x3
	global_load_b64 v[27:28], v[103:104], off
	global_load_b64 v[7:8], v[105:106], off
	;; [unrolled: 1-line block ×4, first 2 shown]
	v_dual_mov_b32 v104, v76 :: v_dual_mov_b32 v103, v80
	v_add_co_u32 v21, s0, v2, v4
	s_wait_alu 0xf1ff
	v_add_co_ci_u32_e64 v22, s0, v3, v5, s0
	v_lshlrev_b64_e32 v[4:5], 3, v[113:114]
	v_add_co_u32 v17, s0, v2, v17
	s_wait_alu 0xf1ff
	v_add_co_ci_u32_e64 v18, s0, v3, v18, s0
	v_mov_b32_e32 v102, v86
	s_delay_alu instid0(VALU_DEP_4)
	v_add_co_u32 v37, s0, v2, v4
	s_wait_alu 0xf1ff
	v_add_co_ci_u32_e64 v38, s0, v3, v5, s0
	s_clause 0x5
	global_load_b64 v[5:6], v[111:112], off
	global_load_b64 v[35:36], v[115:116], off
	;; [unrolled: 1-line block ×6, first 2 shown]
.LBB0_13:
	s_or_b32 exec_lo, exec_lo, s1
	s_wait_loadcnt 0x1b
	v_dual_add_f32 v2, v19, v29 :: v_dual_add_f32 v37, v29, v58
	v_dual_sub_f32 v38, v30, v20 :: v_dual_add_f32 v53, v20, v30
	s_wait_loadcnt 0x4
	s_delay_alu instid0(VALU_DEP_2) | instskip(NEXT) | instid1(VALU_DEP_3)
	v_dual_add_f32 v105, v35, v5 :: v_dual_fmac_f32 v58, -0.5, v2
	v_dual_add_f32 v37, v19, v37 :: v_dual_add_f32 v2, v30, v59
	s_delay_alu instid0(VALU_DEP_3) | instskip(SKIP_1) | instid1(VALU_DEP_3)
	v_dual_fmac_f32 v59, -0.5, v53 :: v_dual_add_f32 v30, v62, v68
	v_sub_f32_e32 v19, v29, v19
	v_dual_fmamk_f32 v53, v38, 0xbf5db3d7, v58 :: v_dual_add_f32 v138, v20, v2
	v_fmac_f32_e32 v58, 0x3f5db3d7, v38
	v_add_f32_e32 v2, v68, v56
	s_delay_alu instid0(VALU_DEP_4)
	v_dual_sub_f32 v20, v69, v63 :: v_dual_fmamk_f32 v139, v19, 0x3f5db3d7, v59
	v_fmac_f32_e32 v59, 0xbf5db3d7, v19
	v_add_f32_e32 v19, v60, v66
	v_fmac_f32_e32 v56, -0.5, v30
	v_add_f32_e32 v30, v66, v51
	v_add_f32_e32 v38, v49, v15
	s_delay_alu instid0(VALU_DEP_4) | instskip(SKIP_3) | instid1(VALU_DEP_3)
	v_dual_add_f32 v64, v45, v13 :: v_dual_fmac_f32 v51, -0.5, v19
	v_dual_sub_f32 v19, v67, v61 :: v_dual_add_f32 v2, v62, v2
	v_fmamk_f32 v29, v20, 0xbf5db3d7, v56
	v_dual_fmac_f32 v56, 0x3f5db3d7, v20 :: v_dual_add_f32 v65, v41, v11
	v_fmamk_f32 v54, v19, 0xbf5db3d7, v51
	v_fmac_f32_e32 v51, 0x3f5db3d7, v19
	v_add_f32_e32 v19, v47, v38
	v_add_f32_e32 v38, v43, v45
	v_dual_add_f32 v20, v47, v49 :: v_dual_add_f32 v73, v25, v7
	s_wait_loadcnt 0x3
	v_add_f32_e32 v106, v31, v105
	v_mad_u32_u24 v140, v98, 12, 0
	v_fmac_f32_e32 v13, -0.5, v38
	v_dual_add_f32 v30, v60, v30 :: v_dual_fmac_f32 v15, -0.5, v20
	v_sub_f32_e32 v20, v50, v48
	v_sub_f32_e32 v38, v46, v44
	v_mad_i32_i24 v141, v101, 12, 0
	v_mad_i32_i24 v142, v102, 12, 0
	ds_store_2addr_b32 v140, v37, v53 offset1:1
	ds_store_b32 v140, v58 offset:8
	v_fmamk_f32 v55, v20, 0xbf5db3d7, v15
	v_dual_fmac_f32 v15, 0x3f5db3d7, v20 :: v_dual_add_f32 v20, v39, v41
	v_fmamk_f32 v70, v38, 0xbf5db3d7, v13
	v_dual_fmac_f32 v13, 0x3f5db3d7, v38 :: v_dual_add_f32 v38, v39, v65
	v_add_f32_e32 v65, v27, v33
	s_delay_alu instid0(VALU_DEP_4)
	v_fmac_f32_e32 v11, -0.5, v20
	v_sub_f32_e32 v20, v42, v40
	v_add_f32_e32 v72, v33, v9
	s_wait_loadcnt 0x1
	v_add_f32_e32 v105, v21, v3
	v_fmac_f32_e32 v9, -0.5, v65
	v_sub_f32_e32 v65, v34, v28
	v_dual_add_f32 v64, v43, v64 :: v_dual_fmamk_f32 v71, v20, 0xbf5db3d7, v11
	v_dual_fmac_f32 v11, 0x3f5db3d7, v20 :: v_dual_add_f32 v20, v23, v25
	v_add_f32_e32 v72, v27, v72
	s_delay_alu instid0(VALU_DEP_4)
	v_fmamk_f32 v74, v65, 0xbf5db3d7, v9
	v_fmac_f32_e32 v9, 0x3f5db3d7, v65
	v_add_f32_e32 v65, v23, v73
	v_add_f32_e32 v73, v31, v35
	ds_store_2addr_b32 v141, v2, v29 offset1:1
	ds_store_b32 v141, v56 offset:8
	v_mad_i32_i24 v58, v103, 12, 0
	ds_store_2addr_b32 v142, v30, v54 offset1:1
	ds_store_b32 v142, v51 offset:8
	v_mad_i32_i24 v51, v131, 12, 0
	v_fmac_f32_e32 v5, -0.5, v73
	v_sub_f32_e32 v73, v36, v32
	v_fmac_f32_e32 v7, -0.5, v20
	v_sub_f32_e32 v20, v26, v24
	v_mad_i32_i24 v143, v130, 12, 0
	v_mad_i32_i24 v144, v129, 12, 0
	v_dual_fmamk_f32 v107, v73, 0xbf5db3d7, v5 :: v_dual_lshlrev_b32 v116, 3, v131
	s_delay_alu instid0(VALU_DEP_4)
	v_dual_fmamk_f32 v75, v20, 0xbf5db3d7, v7 :: v_dual_lshlrev_b32 v114, 3, v104
	v_dual_fmac_f32 v7, 0x3f5db3d7, v20 :: v_dual_lshlrev_b32 v2, 3, v130
	s_wait_loadcnt 0x0
	v_add_f32_e32 v20, v17, v21
	v_dual_fmac_f32 v5, 0x3f5db3d7, v73 :: v_dual_add_f32 v148, v61, v67
	v_add_f32_e32 v73, v17, v105
	v_mad_i32_i24 v105, v104, 12, 0
	s_delay_alu instid0(VALU_DEP_4)
	v_dual_fmac_f32 v3, -0.5, v20 :: v_dual_sub_f32 v20, v22, v18
	v_mad_i32_i24 v145, v128, 12, 0
	v_mad_i32_i24 v146, v125, 12, 0
	ds_store_2addr_b32 v58, v19, v55 offset1:1
	ds_store_b32 v58, v15 offset:8
	ds_store_2addr_b32 v105, v64, v70 offset1:1
	ds_store_b32 v105, v13 offset:8
	;; [unrolled: 2-line block ×3, first 2 shown]
	v_fmamk_f32 v108, v20, 0xbf5db3d7, v3
	v_dual_fmac_f32 v3, 0x3f5db3d7, v20 :: v_dual_sub_f32 v62, v68, v62
	ds_store_2addr_b32 v143, v72, v74 offset1:1
	ds_store_b32 v143, v9 offset:8
	ds_store_2addr_b32 v144, v65, v75 offset1:1
	ds_store_b32 v144, v7 offset:8
	;; [unrolled: 2-line block ×4, first 2 shown]
	v_lshl_add_u32 v106, v98, 2, 0
	v_add_f32_e32 v67, v67, v52
	v_sub_f32_e32 v43, v45, v43
	v_add_f32_e32 v45, v42, v12
	s_delay_alu instid0(VALU_DEP_4)
	v_dual_add_f32 v147, v63, v69 :: v_dual_add_nc_u32 v118, 0x1600, v106
	v_add_nc_u32_e32 v115, 0x2a00, v106
	v_dual_add_f32 v69, v69, v57 :: v_dual_add_nc_u32 v120, 0x1e00, v106
	v_dual_add_f32 v42, v40, v42 :: v_dual_add_f32 v61, v61, v67
	v_dual_sub_f32 v39, v41, v39 :: v_dual_add_f32 v40, v40, v45
	v_add_f32_e32 v45, v28, v34
	v_add_f32_e32 v41, v34, v10
	v_dual_add_f32 v34, v36, v6 :: v_dual_lshlrev_b32 v5, 3, v128
	v_fmac_f32_e32 v57, -0.5, v147
	v_dual_sub_f32 v60, v66, v60 :: v_dual_add_nc_u32 v109, 0x1000, v106
	v_dual_fmac_f32 v52, -0.5, v148 :: v_dual_add_nc_u32 v111, 0x1400, v106
	v_lshlrev_b32_e32 v7, 3, v125
	v_add_f32_e32 v63, v63, v69
	v_sub_f32_e32 v47, v49, v47
	v_dual_sub_f32 v27, v33, v27 :: v_dual_fmac_f32 v12, -0.5, v42
	v_dual_add_f32 v33, v26, v8 :: v_dual_add_f32 v26, v24, v26
	v_sub_f32_e32 v23, v25, v23
	v_add_f32_e32 v25, v32, v36
	v_sub_f32_e32 v31, v35, v31
	v_dual_add_f32 v35, v32, v34 :: v_dual_add_f32 v32, v22, v4
	v_add_f32_e32 v49, v46, v14
	v_dual_add_f32 v46, v44, v46 :: v_dual_lshlrev_b32 v113, 3, v103
	v_dual_fmamk_f32 v66, v62, 0x3f5db3d7, v57 :: v_dual_lshlrev_b32 v3, 3, v129
	v_sub_nc_u32_e32 v136, v145, v5
	v_lshl_add_u32 v107, v101, 2, 0
	v_and_b32_e32 v34, 0xff, v98
	v_dual_fmac_f32 v57, 0xbf5db3d7, v62 :: v_dual_add_f32 v24, v24, v33
	v_fmamk_f32 v62, v60, 0x3f5db3d7, v52
	v_fmac_f32_e32 v52, 0xbf5db3d7, v60
	v_sub_nc_u32_e32 v127, v146, v7
	v_lshl_add_u32 v108, v102, 2, 0
	v_add_nc_u32_e32 v110, 0x2000, v106
	v_sub_nc_u32_e32 v122, v58, v113
	v_sub_nc_u32_e32 v123, v105, v114
	global_wb scope:SCOPE_SE
	s_wait_dscnt 0x0
	s_barrier_signal -1
	s_barrier_wait -1
	global_inv scope:SCOPE_SE
	v_add_nc_u32_e32 v112, 0x2400, v106
	v_sub_nc_u32_e32 v126, v143, v2
	v_sub_nc_u32_e32 v137, v144, v3
	v_add_nc_u32_e32 v119, 0x2800, v106
	v_sub_nc_u32_e32 v124, v51, v116
	v_dual_add_f32 v44, v44, v49 :: v_dual_add_nc_u32 v117, 0x1a00, v106
	ds_load_b32 v135, v106
	ds_load_b32 v134, v107
	;; [unrolled: 1-line block ×8, first 2 shown]
	v_add_f32_e32 v22, v18, v22
	v_add_f32_e32 v18, v18, v32
	v_dual_fmac_f32 v10, -0.5, v45 :: v_dual_add_nc_u32 v121, 0x2e00, v106
	v_add_f32_e32 v28, v28, v41
	ds_load_b32 v7, v136
	ds_load_b32 v5, v127
	ds_load_2addr_b32 v[74:75], v109 offset0:56 offset1:164
	ds_load_2addr_b32 v[72:73], v110 offset0:112 offset1:220
	;; [unrolled: 1-line block ×10, first 2 shown]
	global_wb scope:SCOPE_SE
	s_wait_dscnt 0x0
	s_barrier_signal -1
	s_barrier_wait -1
	global_inv scope:SCOPE_SE
	ds_store_2addr_b32 v140, v138, v139 offset1:1
	ds_store_b32 v140, v59 offset:8
	ds_store_2addr_b32 v141, v63, v66 offset1:1
	ds_store_b32 v141, v57 offset:8
	v_dual_add_f32 v57, v50, v16 :: v_dual_add_f32 v50, v48, v50
	v_dual_fmac_f32 v14, -0.5, v46 :: v_dual_sub_f32 v17, v21, v17
	ds_store_2addr_b32 v142, v61, v62 offset1:1
	ds_store_b32 v142, v52 offset:8
	v_fmac_f32_e32 v8, -0.5, v26
	v_fmac_f32_e32 v16, -0.5, v50
	v_dual_add_f32 v48, v48, v57 :: v_dual_fmamk_f32 v33, v43, 0x3f5db3d7, v14
	v_fmac_f32_e32 v14, 0xbf5db3d7, v43
	v_fmac_f32_e32 v4, -0.5, v22
	s_delay_alu instid0(VALU_DEP_4)
	v_fmamk_f32 v21, v47, 0x3f5db3d7, v16
	v_fmac_f32_e32 v16, 0xbf5db3d7, v47
	ds_store_2addr_b32 v58, v48, v21 offset1:1
	ds_store_b32 v58, v16 offset:8
	ds_store_2addr_b32 v105, v44, v33 offset1:1
	ds_store_b32 v105, v14 offset:8
	v_mul_lo_u16 v14, 0xab, v34
	v_fmamk_f32 v16, v39, 0x3f5db3d7, v12
	v_fmac_f32_e32 v6, -0.5, v25
	v_fmamk_f32 v25, v23, 0x3f5db3d7, v8
	v_fmac_f32_e32 v8, 0xbf5db3d7, v23
	v_lshrrev_b16 v14, 9, v14
	v_fmac_f32_e32 v12, 0xbf5db3d7, v39
	v_fmamk_f32 v21, v27, 0x3f5db3d7, v10
	ds_store_2addr_b32 v51, v40, v16 offset1:1
	ds_store_b32 v51, v12 offset:8
	v_mul_lo_u16 v23, v14, 3
	v_fmac_f32_e32 v10, 0xbf5db3d7, v27
	ds_store_2addr_b32 v143, v28, v21 offset1:1
	ds_store_b32 v143, v10 offset:8
	v_sub_nc_u16 v12, v98, v23
	ds_store_2addr_b32 v144, v24, v25 offset1:1
	ds_store_b32 v144, v8 offset:8
	v_fmamk_f32 v22, v31, 0x3f5db3d7, v6
	v_and_b32_e32 v33, 0xff, v101
	v_fmamk_f32 v26, v17, 0x3f5db3d7, v4
	v_and_b32_e32 v8, 0xff, v12
	v_fmac_f32_e32 v6, 0xbf5db3d7, v31
	v_fmac_f32_e32 v4, 0xbf5db3d7, v17
	v_mul_lo_u16 v10, 0xab, v33
	ds_store_2addr_b32 v145, v35, v22 offset1:1
	ds_store_b32 v145, v6 offset:8
	v_lshlrev_b32_e32 v16, 4, v8
	ds_store_2addr_b32 v146, v18, v26 offset1:1
	ds_store_b32 v146, v4 offset:8
	global_wb scope:SCOPE_SE
	s_wait_dscnt 0x0
	s_barrier_signal -1
	s_barrier_wait -1
	global_inv scope:SCOPE_SE
	global_load_b128 v[39:42], v16, s[4:5]
	v_and_b32_e32 v32, 0xffff, v102
	v_and_b32_e32 v31, 0xffff, v103
	v_lshrrev_b16 v10, 9, v10
	v_and_b32_e32 v14, 0xffff, v14
	v_mul_lo_u16 v34, v34, 57
	v_mul_u32_u24_e32 v6, 0xaaab, v32
	v_mul_u32_u24_e32 v4, 0xaaab, v31
	v_mul_lo_u16 v12, v10, 3
	v_mul_u32_u24_e32 v14, 36, v14
	v_and_b32_e32 v10, 0xffff, v10
	v_lshrrev_b32_e32 v6, 17, v6
	v_lshrrev_b32_e32 v4, 17, v4
	v_sub_nc_u16 v12, v101, v12
	v_cmp_gt_u32_e64 s0, 0x5a, v98
	v_mul_u32_u24_e32 v10, 36, v10
	v_mul_lo_u16 v17, v6, 3
	v_mul_lo_u16 v18, v4, 3
	v_mul_u32_u24_e32 v6, 36, v6
	v_mul_u32_u24_e32 v4, 36, v4
	s_delay_alu instid0(VALU_DEP_4) | instskip(SKIP_2) | instid1(VALU_DEP_3)
	v_sub_nc_u16 v21, v102, v17
	v_and_b32_e32 v17, 0xff, v12
	v_sub_nc_u16 v12, v103, v18
	v_and_b32_e32 v18, 0xffff, v21
	s_delay_alu instid0(VALU_DEP_3) | instskip(NEXT) | instid1(VALU_DEP_2)
	v_lshlrev_b32_e32 v21, 4, v17
	v_lshlrev_b32_e32 v23, 4, v18
	global_load_b128 v[43:46], v21, s[4:5]
	v_and_b32_e32 v28, 0xffff, v104
	v_and_b32_e32 v16, 0xffff, v12
	;; [unrolled: 1-line block ×3, first 2 shown]
	global_load_b128 v[47:50], v23, s[4:5]
	v_and_b32_e32 v25, 0xffff, v129
	v_mul_u32_u24_e32 v22, 0xaaab, v28
	s_delay_alu instid0(VALU_DEP_2) | instskip(NEXT) | instid1(VALU_DEP_2)
	v_mul_u32_u24_e32 v25, 0xaaab, v25
	v_lshrrev_b32_e32 v12, 17, v22
	v_lshlrev_b32_e32 v22, 4, v16
	s_delay_alu instid0(VALU_DEP_3)
	v_lshrrev_b32_e32 v167, 17, v25
	global_load_b128 v[60:63], v22, s[4:5]
	v_mul_lo_u16 v23, v12, 3
	v_and_b32_e32 v22, 0xffff, v130
	v_and_b32_e32 v27, 0xffff, v128
	v_mul_u32_u24_e32 v12, 36, v12
	s_delay_alu instid0(VALU_DEP_4) | instskip(NEXT) | instid1(VALU_DEP_4)
	v_sub_nc_u16 v23, v104, v23
	v_mul_u32_u24_e32 v22, 0xaaab, v22
	s_delay_alu instid0(VALU_DEP_2) | instskip(NEXT) | instid1(VALU_DEP_2)
	v_and_b32_e32 v23, 0xffff, v23
	v_lshrrev_b32_e32 v22, 17, v22
	s_delay_alu instid0(VALU_DEP_2) | instskip(NEXT) | instid1(VALU_DEP_2)
	v_lshlrev_b32_e32 v26, 4, v23
	v_mul_lo_u16 v35, v22, 3
	global_load_b128 v[138:141], v26, s[4:5]
	s_wait_loadcnt 0x3
	v_mul_f32_e32 v52, v75, v44
	v_mul_u32_u24_e32 v21, 0xaaab, v21
	s_delay_alu instid0(VALU_DEP_1) | instskip(NEXT) | instid1(VALU_DEP_1)
	v_lshrrev_b32_e32 v21, 17, v21
	v_mul_lo_u16 v24, v21, 3
	s_delay_alu instid0(VALU_DEP_1) | instskip(NEXT) | instid1(VALU_DEP_1)
	v_sub_nc_u16 v24, v131, v24
	v_and_b32_e32 v166, 0xffff, v24
	v_mul_u32_u24_e32 v24, 0xaaab, v27
	s_delay_alu instid0(VALU_DEP_2) | instskip(NEXT) | instid1(VALU_DEP_2)
	v_lshlrev_b32_e32 v27, 4, v166
	v_lshrrev_b32_e32 v25, 17, v24
	v_mul_lo_u16 v24, v167, 3
	global_load_b128 v[142:145], v27, s[4:5]
	v_sub_nc_u16 v26, v130, v35
	v_and_b32_e32 v35, 0xffff, v125
	v_mul_lo_u16 v27, v25, 3
	s_delay_alu instid0(VALU_DEP_3) | instskip(NEXT) | instid1(VALU_DEP_3)
	v_and_b32_e32 v168, 0xffff, v26
	v_mul_u32_u24_e32 v26, 0xaaab, v35
	v_sub_nc_u16 v35, v129, v24
	s_delay_alu instid0(VALU_DEP_3) | instskip(NEXT) | instid1(VALU_DEP_3)
	v_lshlrev_b32_e32 v36, 4, v168
	v_lshrrev_b32_e32 v24, 17, v26
	v_sub_nc_u16 v26, v128, v27
	s_delay_alu instid0(VALU_DEP_4) | instskip(SKIP_4) | instid1(VALU_DEP_3)
	v_and_b32_e32 v169, 0xffff, v35
	global_load_b128 v[128:131], v36, s[4:5]
	v_mul_lo_u16 v27, v24, 3
	v_and_b32_e32 v170, 0xffff, v26
	v_lshlrev_b32_e32 v35, 4, v169
	v_sub_nc_u16 v26, v125, v27
	s_delay_alu instid0(VALU_DEP_3)
	v_lshlrev_b32_e32 v27, 4, v170
	global_load_b128 v[146:149], v35, s[4:5]
	v_dual_mul_f32 v35, v74, v40 :: v_dual_lshlrev_b32 v18, 2, v18
	v_and_b32_e32 v125, 0xffff, v26
	global_load_b128 v[150:153], v27, s[4:5]
	v_lshlrev_b32_e32 v26, 4, v125
	global_load_b128 v[154:157], v26, s[4:5]
	ds_load_2addr_b32 v[26:27], v109 offset0:56 offset1:164
	ds_load_2addr_b32 v[67:68], v110 offset0:112 offset1:220
	;; [unrolled: 1-line block ×6, first 2 shown]
	s_wait_dscnt 0x4
	v_dual_mul_f32 v171, v26, v40 :: v_dual_mul_f32 v172, v67, v42
	s_wait_loadcnt_dscnt 0x702
	v_dual_mul_f32 v59, v27, v44 :: v_dual_mul_f32 v44, v160, v50
	v_mul_f32_e32 v50, v64, v50
	s_delay_alu instid0(VALU_DEP_3) | instskip(SKIP_1) | instid1(VALU_DEP_4)
	v_dual_mul_f32 v40, v72, v42 :: v_dual_fmac_f32 v171, v74, v39
	v_fma_f32 v39, v26, v39, -v35
	v_fmac_f32_e32 v44, v64, v49
	s_delay_alu instid0(VALU_DEP_4)
	v_fma_f32 v57, v160, v49, -v50
	s_wait_loadcnt_dscnt 0x500
	v_mul_f32_e32 v49, v164, v141
	v_fmac_f32_e32 v172, v72, v41
	v_fma_f32 v72, v27, v43, -v52
	ds_load_2addr_b32 v[26:27], v117 offset0:64 offset1:172
	v_dual_mul_f32 v66, v68, v46 :: v_dual_fmac_f32 v49, v53, v140
	v_mul_f32_e32 v46, v73, v46
	v_mul_f32_e32 v42, v158, v48
	;; [unrolled: 1-line block ×4, first 2 shown]
	v_fmac_f32_e32 v66, v73, v45
	v_fma_f32 v69, v68, v45, -v46
	v_mul_f32_e32 v61, v71, v61
	v_fma_f32 v173, v67, v41, -v40
	v_fmac_f32_e32 v59, v75, v43
	v_fmac_f32_e32 v42, v70, v47
	v_fma_f32 v68, v158, v47, -v48
	v_fmac_f32_e32 v36, v71, v60
	v_mul_f32_e32 v50, v161, v63
	v_mul_f32_e32 v35, v65, v63
	;; [unrolled: 1-line block ×3, first 2 shown]
	ds_load_2addr_b32 v[70:71], v115 offset0:120 offset1:228
	ds_load_2addr_b32 v[73:74], v120 offset0:24 offset1:132
	v_fma_f32 v61, v159, v60, -v61
	v_dual_fmac_f32 v43, v55, v138 :: v_dual_lshlrev_b32 v8, 2, v8
	v_lshlrev_b32_e32 v16, 2, v16
	v_mul_u32_u24_e32 v31, 0x2d83, v31
	v_mul_u32_u24_e32 v28, 0x2d83, v28
	v_lshlrev_b32_e32 v17, 2, v17
	s_delay_alu instid0(VALU_DEP_3) | instskip(NEXT) | instid1(VALU_DEP_3)
	v_lshrrev_b32_e32 v31, 20, v31
	v_lshrrev_b32_e32 v28, 20, v28
	s_wait_loadcnt 0x4
	v_mul_f32_e32 v45, v56, v143
	v_mul_f32_e32 v41, v165, v145
	s_delay_alu instid0(VALU_DEP_2) | instskip(NEXT) | instid1(VALU_DEP_2)
	v_fma_f32 v47, v163, v142, -v45
	v_fmac_f32_e32 v41, v54, v144
	s_wait_loadcnt_dscnt 0x302
	v_dual_mul_f32 v45, v26, v129 :: v_dual_mul_f32 v40, v55, v139
	v_fmac_f32_e32 v50, v65, v62
	v_fma_f32 v62, v161, v62, -v35
	v_mul_f32_e32 v35, v53, v141
	s_delay_alu instid0(VALU_DEP_4)
	v_fmac_f32_e32 v45, v37, v128
	v_fma_f32 v60, v162, v138, -v40
	ds_load_2addr_b32 v[138:139], v121 offset0:80 offset1:188
	v_mul_f32_e32 v40, v163, v143
	v_fma_f32 v63, v164, v140, -v35
	v_mul_f32_e32 v35, v54, v145
	s_wait_loadcnt 0x2
	v_dual_mul_f32 v46, v37, v129 :: v_dual_mul_f32 v37, v27, v147
	v_fmac_f32_e32 v40, v56, v142
	v_add3_u32 v129, 0, v14, v8
	v_fma_f32 v54, v165, v144, -v35
	v_mul_f32_e32 v35, v29, v131
	v_fmac_f32_e32 v37, v38, v146
	v_fma_f32 v65, v26, v128, -v46
	v_mul_f32_e32 v26, v38, v147
	s_wait_dscnt 0x2
	v_mul_f32_e32 v46, v71, v149
	v_fma_f32 v64, v70, v130, -v35
	s_wait_loadcnt_dscnt 0x1
	v_mul_f32_e32 v35, v74, v155
	v_mul_f32_e32 v56, v70, v131
	v_mul_f32_e32 v38, v73, v151
	v_fma_f32 v52, v27, v146, -v26
	v_sub_f32_e32 v14, v39, v173
	s_wait_dscnt 0x0
	v_dual_mul_f32 v53, v138, v153 :: v_dual_mul_f32 v26, v19, v151
	v_fmac_f32_e32 v35, v20, v154
	v_dual_fmac_f32 v56, v29, v130 :: v_dual_mul_f32 v29, v30, v149
	s_delay_alu instid0(VALU_DEP_3) | instskip(NEXT) | instid1(VALU_DEP_4)
	v_fmac_f32_e32 v53, v2, v152
	v_fma_f32 v67, v73, v150, -v26
	v_mul_f32_e32 v26, v20, v155
	v_add_f32_e32 v20, v171, v172
	v_dual_fmac_f32 v38, v19, v150 :: v_dual_mul_f32 v19, v2, v153
	v_add_f32_e32 v149, v72, v69
	s_delay_alu instid0(VALU_DEP_4) | instskip(NEXT) | instid1(VALU_DEP_4)
	v_fma_f32 v73, v74, v154, -v26
	v_dual_add_f32 v26, v135, v171 :: v_dual_fmac_f32 v135, -0.5, v20
	s_delay_alu instid0(VALU_DEP_4) | instskip(SKIP_2) | instid1(VALU_DEP_4)
	v_fma_f32 v2, v138, v152, -v19
	v_dual_mul_f32 v19, v3, v157 :: v_dual_fmac_f32 v46, v30, v148
	v_mul_f32_e32 v74, v139, v157
	v_add_f32_e32 v8, v26, v172
	v_add_f32_e32 v20, v59, v66
	s_delay_alu instid0(VALU_DEP_4)
	v_fma_f32 v75, v139, v156, -v19
	v_fmamk_f32 v19, v14, 0xbf5db3d7, v135
	v_dual_fmac_f32 v135, 0x3f5db3d7, v14 :: v_dual_add_f32 v14, v134, v59
	v_fmac_f32_e32 v74, v3, v156
	ds_load_b32 v130, v106
	ds_load_b32 v131, v107
	;; [unrolled: 1-line block ×10, first 2 shown]
	global_wb scope:SCOPE_SE
	s_wait_dscnt 0x0
	s_barrier_signal -1
	s_barrier_wait -1
	global_inv scope:SCOPE_SE
	v_fmac_f32_e32 v134, -0.5, v20
	v_sub_f32_e32 v20, v72, v69
	ds_store_2addr_b32 v129, v8, v19 offset1:3
	ds_store_b32 v129, v135 offset:24
	v_add_f32_e32 v8, v14, v66
	v_add_f32_e32 v14, v42, v44
	v_add3_u32 v135, 0, v10, v17
	v_dual_fmamk_f32 v10, v20, 0xbf5db3d7, v134 :: v_dual_add_f32 v17, v133, v42
	s_delay_alu instid0(VALU_DEP_3)
	v_dual_fmac_f32 v134, 0x3f5db3d7, v20 :: v_dual_fmac_f32 v133, -0.5, v14
	v_sub_f32_e32 v14, v68, v57
	ds_store_2addr_b32 v135, v8, v10 offset1:3
	ds_store_b32 v135, v134 offset:24
	v_add3_u32 v134, 0, v6, v18
	v_add_f32_e32 v6, v17, v44
	v_fmamk_f32 v8, v14, 0xbf5db3d7, v133
	v_add_f32_e32 v10, v36, v50
	v_dual_fmac_f32 v133, 0x3f5db3d7, v14 :: v_dual_add_f32 v14, v132, v36
	ds_store_2addr_b32 v134, v6, v8 offset1:3
	ds_store_b32 v134, v133 offset:24
	v_add3_u32 v133, 0, v4, v16
	v_add_f32_e32 v8, v43, v49
	v_dual_sub_f32 v59, v59, v66 :: v_dual_lshlrev_b32 v16, 2, v169
	v_add_f32_e32 v72, v131, v72
	v_dual_fmac_f32 v132, -0.5, v10 :: v_dual_fmac_f32 v131, -0.5, v149
	v_sub_f32_e32 v10, v61, v62
	v_add_f32_e32 v66, v68, v57
	v_sub_f32_e32 v42, v42, v44
	v_dual_add_f32 v44, v61, v62 :: v_dual_add_f32 v69, v72, v69
	v_fmamk_f32 v72, v59, 0x3f5db3d7, v131
	v_dual_fmac_f32 v131, 0xbf5db3d7, v59 :: v_dual_fmamk_f32 v6, v10, 0xbf5db3d7, v132
	v_dual_add_f32 v61, v139, v61 :: v_dual_fmac_f32 v132, 0x3f5db3d7, v10
	s_delay_alu instid0(VALU_DEP_4)
	v_fmac_f32_e32 v139, -0.5, v44
	v_add_f32_e32 v59, v138, v68
	v_add_f32_e32 v4, v14, v50
	v_fmac_f32_e32 v138, -0.5, v66
	v_dual_add_f32 v10, v15, v43 :: v_dual_fmac_f32 v15, -0.5, v8
	v_sub_f32_e32 v36, v36, v50
	v_sub_f32_e32 v8, v60, v63
	v_dual_add_f32 v57, v59, v57 :: v_dual_lshlrev_b32 v14, 2, v23
	ds_store_2addr_b32 v133, v4, v6 offset1:3
	ds_store_b32 v133, v132 offset:24
	v_fmamk_f32 v50, v36, 0x3f5db3d7, v139
	v_fmac_f32_e32 v139, 0xbf5db3d7, v36
	v_fmamk_f32 v6, v8, 0xbf5db3d7, v15
	v_dual_fmac_f32 v15, 0x3f5db3d7, v8 :: v_dual_add_f32 v8, v40, v41
	v_add3_u32 v132, 0, v12, v14
	v_lshlrev_b32_e32 v12, 2, v166
	v_dual_add_f32 v14, v13, v40 :: v_dual_fmamk_f32 v59, v42, 0x3f5db3d7, v138
	v_add_f32_e32 v4, v10, v49
	v_mul_u32_u24_e32 v10, 36, v21
	v_fmac_f32_e32 v13, -0.5, v8
	v_add_f32_e32 v8, v45, v56
	v_fma_f32 v48, v71, v148, -v29
	ds_store_2addr_b32 v132, v4, v6 offset1:3
	v_sub_f32_e32 v40, v40, v41
	v_add_f32_e32 v4, v14, v41
	v_sub_f32_e32 v6, v47, v54
	v_add_f32_e32 v14, v11, v45
	v_add_f32_e32 v41, v142, v65
	v_add3_u32 v143, 0, v10, v12
	v_mul_u32_u24_e32 v10, 36, v22
	v_lshlrev_b32_e32 v12, 2, v168
	v_dual_fmac_f32 v11, -0.5, v8 :: v_dual_add_f32 v8, v37, v46
	ds_store_b32 v132, v15 offset:24
	v_fmamk_f32 v15, v6, 0xbf5db3d7, v13
	v_fmac_f32_e32 v13, 0x3f5db3d7, v6
	v_add3_u32 v144, 0, v10, v12
	v_add_f32_e32 v6, v14, v56
	v_add_f32_e32 v12, v9, v37
	v_sub_f32_e32 v37, v37, v46
	v_sub_f32_e32 v10, v65, v64
	v_mul_u32_u24_e32 v14, 36, v167
	v_fmac_f32_e32 v9, -0.5, v8
	v_dual_sub_f32 v8, v52, v48 :: v_dual_add_nc_u32 v169, 0x600, v106
	s_delay_alu instid0(VALU_DEP_4)
	v_fmamk_f32 v17, v10, 0xbf5db3d7, v11
	v_fmac_f32_e32 v11, 0x3f5db3d7, v10
	v_add3_u32 v145, 0, v14, v16
	v_add_f32_e32 v10, v12, v46
	v_fmamk_f32 v12, v8, 0xbf5db3d7, v9
	ds_store_2addr_b32 v143, v4, v15 offset1:3
	ds_store_b32 v143, v13 offset:24
	ds_store_2addr_b32 v144, v6, v17 offset1:3
	ds_store_b32 v144, v11 offset:24
	ds_store_2addr_b32 v145, v10, v12 offset1:3
	v_dual_add_f32 v4, v38, v53 :: v_dual_fmac_f32 v9, 0x3f5db3d7, v8
	v_mul_u32_u24_e32 v6, 36, v25
	v_lshlrev_b32_e32 v8, 2, v170
	s_delay_alu instid0(VALU_DEP_3)
	v_dual_add_f32 v10, v7, v38 :: v_dual_fmac_f32 v7, -0.5, v4
	v_sub_f32_e32 v4, v67, v2
	ds_store_b32 v145, v9 offset:24
	v_add3_u32 v146, 0, v6, v8
	v_add_f32_e32 v8, v35, v74
	v_dual_add_f32 v6, v10, v53 :: v_dual_fmamk_f32 v9, v4, 0xbf5db3d7, v7
	v_add_f32_e32 v10, v5, v35
	v_mul_u32_u24_e32 v11, 36, v24
	s_delay_alu instid0(VALU_DEP_4)
	v_dual_fmac_f32 v5, -0.5, v8 :: v_dual_lshlrev_b32 v12, 2, v125
	v_sub_f32_e32 v8, v73, v75
	ds_store_2addr_b32 v146, v6, v9 offset1:3
	v_fmac_f32_e32 v7, 0x3f5db3d7, v4
	v_add3_u32 v147, 0, v11, v12
	v_add_f32_e32 v4, v10, v74
	v_dual_fmamk_f32 v6, v8, 0xbf5db3d7, v5 :: v_dual_add_f32 v9, v130, v39
	v_dual_add_f32 v10, v39, v173 :: v_dual_fmac_f32 v5, 0x3f5db3d7, v8
	ds_store_b32 v146, v7 offset:24
	ds_store_2addr_b32 v147, v4, v6 offset1:3
	v_dual_add_f32 v125, v9, v173 :: v_dual_fmac_f32 v130, -0.5, v10
	ds_store_b32 v147, v5 offset:24
	global_wb scope:SCOPE_SE
	s_wait_dscnt 0x0
	s_barrier_signal -1
	s_barrier_wait -1
	global_inv scope:SCOPE_SE
	ds_load_b32 v55, v127
	ds_load_b32 v39, v106
	;; [unrolled: 1-line block ×3, first 2 shown]
	v_add_nc_u32_e32 v70, 0xa00, v106
	ds_load_b32 v71, v126
	ds_load_b32 v128, v122
	;; [unrolled: 1-line block ×3, first 2 shown]
	ds_load_2addr_b32 v[22:23], v111 offset0:16 offset1:124
	ds_load_2addr_b32 v[18:19], v118 offset0:104 offset1:212
	;; [unrolled: 1-line block ×12, first 2 shown]
	v_sub_f32_e32 v148, v171, v172
	v_fmac_f32_e32 v138, 0xbf5db3d7, v42
	v_add_f32_e32 v42, v60, v63
	global_wb scope:SCOPE_SE
	s_wait_dscnt 0x0
	s_barrier_signal -1
	v_fmamk_f32 v150, v148, 0x3f5db3d7, v130
	v_fmac_f32_e32 v130, 0xbf5db3d7, v148
	s_barrier_wait -1
	global_inv scope:SCOPE_SE
	ds_store_2addr_b32 v129, v125, v150 offset1:3
	ds_store_b32 v129, v130 offset:24
	ds_store_2addr_b32 v135, v69, v72 offset1:3
	ds_store_b32 v135, v131 offset:24
	ds_store_2addr_b32 v134, v57, v59 offset1:3
	v_dual_add_f32 v44, v61, v62 :: v_dual_add_f32 v57, v140, v60
	v_fmac_f32_e32 v140, -0.5, v42
	v_sub_f32_e32 v42, v43, v49
	v_add_f32_e32 v43, v47, v54
	ds_store_b32 v134, v138 offset:24
	ds_store_2addr_b32 v133, v44, v50 offset1:3
	v_dual_add_f32 v47, v141, v47 :: v_dual_fmamk_f32 v44, v42, 0x3f5db3d7, v140
	v_fmac_f32_e32 v140, 0xbf5db3d7, v42
	v_dual_add_f32 v42, v65, v64 :: v_dual_fmac_f32 v141, -0.5, v43
	v_add_f32_e32 v49, v137, v52
	s_delay_alu instid0(VALU_DEP_4) | instskip(SKIP_1) | instid1(VALU_DEP_4)
	v_add_f32_e32 v43, v47, v54
	v_lshrrev_b16 v125, 9, v34
	v_fmac_f32_e32 v142, -0.5, v42
	v_dual_sub_f32 v42, v45, v56 :: v_dual_fmamk_f32 v45, v40, 0x3f5db3d7, v141
	v_fmac_f32_e32 v141, 0xbf5db3d7, v40
	v_add_f32_e32 v40, v41, v64
	v_add_f32_e32 v41, v52, v48
	s_delay_alu instid0(VALU_DEP_4)
	v_fmamk_f32 v47, v42, 0x3f5db3d7, v142
	v_fmac_f32_e32 v142, 0xbf5db3d7, v42
	v_add_f32_e32 v42, v67, v2
	v_sub_f32_e32 v38, v38, v53
	v_fmac_f32_e32 v137, -0.5, v41
	v_dual_add_f32 v41, v136, v67 :: v_dual_sub_f32 v34, v35, v74
	s_delay_alu instid0(VALU_DEP_4) | instskip(SKIP_1) | instid1(VALU_DEP_4)
	v_fmac_f32_e32 v136, -0.5, v42
	v_add_f32_e32 v42, v49, v48
	v_fmamk_f32 v46, v37, 0x3f5db3d7, v137
	v_fmac_f32_e32 v137, 0xbf5db3d7, v37
	v_dual_add_f32 v37, v73, v75 :: v_dual_add_f32 v48, v3, v73
	v_dual_add_f32 v2, v41, v2 :: v_dual_fmamk_f32 v41, v38, 0x3f5db3d7, v136
	s_delay_alu instid0(VALU_DEP_2) | instskip(SKIP_1) | instid1(VALU_DEP_4)
	v_dual_fmac_f32 v136, 0xbf5db3d7, v38 :: v_dual_fmac_f32 v3, -0.5, v37
	v_mul_lo_u16 v37, v125, 9
	v_add_f32_e32 v35, v48, v75
	v_add_f32_e32 v36, v57, v63
	ds_store_b32 v133, v139 offset:24
	v_fmamk_f32 v38, v34, 0x3f5db3d7, v3
	v_fmac_f32_e32 v3, 0xbf5db3d7, v34
	v_sub_nc_u16 v34, v98, v37
	ds_store_2addr_b32 v132, v36, v44 offset1:3
	ds_store_b32 v132, v140 offset:24
	ds_store_2addr_b32 v143, v43, v45 offset1:3
	ds_store_b32 v143, v141 offset:24
	;; [unrolled: 2-line block ×3, first 2 shown]
	ds_store_2addr_b32 v145, v42, v46 offset1:3
	v_and_b32_e32 v125, 0xffff, v125
	v_and_b32_e32 v75, 0xff, v34
	v_mul_lo_u16 v34, v33, 57
	ds_store_b32 v145, v137 offset:24
	ds_store_2addr_b32 v146, v2, v41 offset1:3
	ds_store_b32 v146, v136 offset:24
	ds_store_b32 v147, v3 offset:24
	ds_store_2addr_b32 v147, v35, v38 offset1:3
	v_mul_u32_u24_e32 v2, 9, v75
	v_lshrrev_b16 v73, 9, v34
	v_mul_u32_u24_e32 v34, 0xe38f, v32
	global_wb scope:SCOPE_SE
	s_wait_dscnt 0x0
	s_barrier_signal -1
	v_lshlrev_b32_e32 v2, 3, v2
	v_mul_lo_u16 v3, v73, 9
	v_lshrrev_b32_e32 v67, 19, v34
	s_barrier_wait -1
	global_inv scope:SCOPE_SE
	s_clause 0x1
	global_load_b128 v[35:38], v2, s[4:5] offset:48
	global_load_b128 v[41:44], v2, s[4:5] offset:64
	v_sub_nc_u16 v3, v101, v3
	v_mul_lo_u16 v34, v67, 9
	v_mul_lo_u16 v33, 0xb7, v33
	s_delay_alu instid0(VALU_DEP_3) | instskip(NEXT) | instid1(VALU_DEP_3)
	v_and_b32_e32 v74, 0xff, v3
	v_sub_nc_u16 v3, v102, v34
	s_delay_alu instid0(VALU_DEP_2) | instskip(NEXT) | instid1(VALU_DEP_2)
	v_mul_u32_u24_e32 v34, 9, v74
	v_and_b32_e32 v69, 0xffff, v3
	s_delay_alu instid0(VALU_DEP_2) | instskip(NEXT) | instid1(VALU_DEP_2)
	v_lshlrev_b32_e32 v3, 3, v34
	v_mul_u32_u24_e32 v34, 9, v69
	global_load_b128 v[45:48], v3, s[4:5] offset:48
	v_lshlrev_b32_e32 v34, 3, v34
	s_clause 0xb
	global_load_b128 v[129:132], v34, s[4:5] offset:48
	global_load_b128 v[133:136], v3, s[4:5] offset:64
	;; [unrolled: 1-line block ×9, first 2 shown]
	global_load_b64 v[165:166], v2, s[4:5] offset:112
	global_load_b64 v[167:168], v3, s[4:5] offset:112
	;; [unrolled: 1-line block ×3, first 2 shown]
	ds_load_b32 v40, v122
	ds_load_b32 v57, v126
	;; [unrolled: 1-line block ×3, first 2 shown]
	ds_load_2addr_b32 v[49:50], v111 offset0:16 offset1:124
	ds_load_2addr_b32 v[52:53], v169 offset0:48 offset1:156
	ds_load_b32 v34, v108
	s_wait_loadcnt_dscnt 0xe05
	v_mul_f32_e32 v54, v40, v36
	s_wait_loadcnt_dscnt 0xd03
	v_dual_mul_f32 v36, v128, v36 :: v_dual_mul_f32 v127, v62, v42
	s_delay_alu instid0(VALU_DEP_2) | instskip(NEXT) | instid1(VALU_DEP_2)
	v_fmac_f32_e32 v54, v128, v35
	v_fma_f32 v56, v40, v35, -v36
	v_dual_mul_f32 v35, v55, v42 :: v_dual_mul_f32 v36, v22, v44
	s_delay_alu instid0(VALU_DEP_4) | instskip(NEXT) | instid1(VALU_DEP_2)
	v_fmac_f32_e32 v127, v55, v41
	v_fma_f32 v126, v62, v41, -v35
	s_wait_dscnt 0x2
	s_delay_alu instid0(VALU_DEP_3) | instskip(SKIP_3) | instid1(VALU_DEP_1)
	v_fma_f32 v64, v49, v43, -v36
	ds_load_2addr_b32 v[62:63], v109 offset0:56 offset1:164
	s_wait_loadcnt_dscnt 0xb02
	v_mul_f32_e32 v35, v53, v130
	v_fmac_f32_e32 v35, v27, v129
	ds_load_2addr_b32 v[59:60], v70 offset0:116 offset1:224
	v_mul_f32_e32 v70, v57, v38
	v_mul_f32_e32 v38, v71, v38
	;; [unrolled: 1-line block ×4, first 2 shown]
	s_delay_alu instid0(VALU_DEP_4) | instskip(NEXT) | instid1(VALU_DEP_3)
	v_dual_fmac_f32 v70, v71, v37 :: v_dual_mul_f32 v71, v49, v44
	v_fmac_f32_e32 v42, v26, v45
	v_fma_f32 v61, v57, v37, -v38
	s_delay_alu instid0(VALU_DEP_3) | instskip(SKIP_1) | instid1(VALU_DEP_1)
	v_fmac_f32_e32 v71, v22, v43
	v_mul_f32_e32 v22, v26, v46
	v_fma_f32 v43, v52, v45, -v22
	ds_load_2addr_b32 v[44:45], v118 offset0:104 offset1:212
	v_mul_f32_e32 v22, v27, v130
	s_wait_dscnt 0x1
	v_mul_f32_e32 v38, v60, v132
	ds_load_2addr_b32 v[26:27], v120 offset0:24 offset1:132
	v_mul_f32_e32 v49, v59, v48
	v_fma_f32 v48, v59, v47, -v36
	v_fma_f32 v36, v53, v129, -v22
	v_fmac_f32_e32 v38, v25, v131
	v_mul_f32_e32 v22, v25, v132
	s_wait_loadcnt 0xa
	v_mul_f32_e32 v25, v23, v136
	v_fmac_f32_e32 v49, v24, v47
	ds_load_2addr_b32 v[46:47], v117 offset0:64 offset1:172
	v_mul_f32_e32 v52, v50, v136
	ds_load_2addr_b32 v[128:129], v119 offset0:32 offset1:140
	v_fma_f32 v53, v50, v135, -v25
	s_wait_loadcnt 0x9
	v_mul_f32_e32 v25, v18, v140
	v_mul_f32_e32 v24, v62, v134
	v_fma_f32 v37, v60, v131, -v22
	v_dual_fmac_f32 v52, v23, v135 :: v_dual_mul_f32 v23, v20, v134
	s_wait_dscnt 0x3
	v_mul_f32_e32 v40, v44, v140
	v_fma_f32 v41, v44, v139, -v25
	s_wait_loadcnt 0x8
	v_dual_mul_f32 v25, v45, v142 :: v_dual_fmac_f32 v24, v20, v133
	v_mul_f32_e32 v20, v21, v138
	v_fmac_f32_e32 v40, v18, v139
	v_fma_f32 v23, v62, v133, -v23
	s_wait_dscnt 0x2
	v_dual_fmac_f32 v25, v19, v141 :: v_dual_mul_f32 v18, v26, v144
	s_wait_loadcnt 0x7
	v_mul_f32_e32 v57, v27, v148
	ds_load_2addr_b32 v[130:131], v112 offset0:72 offset1:180
	ds_load_2addr_b32 v[132:133], v115 offset0:120 offset1:228
	v_mul_f32_e32 v44, v16, v144
	v_fmac_f32_e32 v18, v16, v143
	v_dual_mul_f32 v22, v63, v138 :: v_dual_fmac_f32 v57, v17, v147
	s_wait_loadcnt_dscnt 0x402
	v_mul_f32_e32 v66, v129, v160
	v_fma_f32 v68, v26, v143, -v44
	v_mul_f32_e32 v26, v14, v146
	v_dual_fmac_f32 v22, v21, v137 :: v_dual_mul_f32 v21, v19, v142
	v_mul_f32_e32 v16, v47, v150
	v_fmac_f32_e32 v66, v13, v159
	s_delay_alu instid0(VALU_DEP_4) | instskip(SKIP_4) | instid1(VALU_DEP_2)
	v_fma_f32 v59, v46, v145, -v26
	v_sub_f32_e32 v138, v64, v68
	v_fma_f32 v19, v45, v141, -v21
	v_mul_f32_e32 v21, v17, v148
	v_dual_mul_f32 v17, v46, v146 :: v_dual_fmac_f32 v16, v15, v149
	v_fma_f32 v60, v27, v147, -v21
	s_delay_alu instid0(VALU_DEP_2)
	v_dual_fmac_f32 v17, v14, v145 :: v_dual_mul_f32 v14, v15, v150
	v_mul_f32_e32 v27, v12, v156
	s_wait_loadcnt_dscnt 0x300
	v_mul_f32_e32 v55, v132, v164
	v_mul_f32_e32 v15, v4, v152
	;; [unrolled: 1-line block ×3, first 2 shown]
	v_fma_f32 v44, v47, v149, -v14
	v_mul_f32_e32 v47, v13, v160
	v_mul_f32_e32 v13, v11, v162
	v_fma_f32 v72, v128, v155, -v27
	v_mul_f32_e32 v27, v6, v164
	v_fmac_f32_e32 v55, v6, v163
	v_fma_f32 v65, v129, v159, -v47
	v_fma_f32 v47, v131, v161, -v13
	s_wait_loadcnt 0x2
	v_mul_f32_e32 v13, v133, v166
	v_mul_f32_e32 v6, v7, v166
	v_sub_f32_e32 v134, v61, v72
	v_fma_f32 v50, v132, v163, -v27
	s_wait_loadcnt 0x1
	v_mul_f32_e32 v27, v8, v168
	v_fmac_f32_e32 v13, v7, v165
	v_fma_f32 v6, v133, v165, -v6
	s_delay_alu instid0(VALU_DEP_2)
	v_add_f32_e32 v143, v127, v13
	v_fma_f32 v20, v63, v137, -v20
	ds_load_2addr_b32 v[62:63], v110 offset0:112 offset1:220
	s_wait_dscnt 0x0
	v_dual_add_f32 v147, v36, v20 :: v_dual_mul_f32 v26, v63, v154
	v_fma_f32 v45, v62, v151, -v15
	v_fma_f32 v14, v63, v153, -v21
	v_mul_f32_e32 v15, v128, v156
	s_delay_alu instid0(VALU_DEP_4) | instskip(NEXT) | instid1(VALU_DEP_2)
	v_dual_mul_f32 v21, v130, v158 :: v_dual_fmac_f32 v26, v5, v153
	v_dual_sub_f32 v128, v6, v14 :: v_dual_fmac_f32 v15, v12, v155
	s_delay_alu instid0(VALU_DEP_2) | instskip(NEXT) | instid1(VALU_DEP_3)
	v_fmac_f32_e32 v21, v10, v157
	v_dual_sub_f32 v133, v25, v26 :: v_dual_mul_f32 v46, v62, v152
	v_mul_f32_e32 v12, v10, v158
	v_mul_f32_e32 v10, v131, v162
	v_sub_f32_e32 v7, v15, v18
	v_sub_f32_e32 v136, v19, v14
	v_fmac_f32_e32 v46, v4, v151
	ds_load_2addr_b32 v[4:5], v121 offset0:80 offset1:188
	v_fma_f32 v62, v130, v157, -v12
	v_fmac_f32_e32 v10, v11, v161
	s_wait_loadcnt_dscnt 0x0
	v_dual_mul_f32 v12, v4, v168 :: v_dual_mul_f32 v11, v5, v3
	v_fma_f32 v63, v4, v167, -v27
	v_sub_f32_e32 v4, v70, v71
	v_mul_f32_e32 v3, v9, v3
	v_sub_f32_e32 v27, v126, v19
	v_fmac_f32_e32 v11, v9, v2
	s_delay_alu instid0(VALU_DEP_4)
	v_dual_sub_f32 v9, v13, v26 :: v_dual_add_f32 v4, v4, v7
	v_fmac_f32_e32 v12, v8, v167
	v_sub_f32_e32 v8, v127, v25
	v_fma_f32 v3, v5, v2, -v3
	v_mul_u32_u24_e32 v2, 0x168, v125
	v_add_f32_e32 v7, v27, v128
	s_delay_alu instid0(VALU_DEP_4) | instskip(SKIP_3) | instid1(VALU_DEP_3)
	v_add_f32_e32 v5, v8, v9
	v_lshlrev_b32_e32 v9, 2, v75
	v_add_f32_e32 v75, v71, v18
	v_add_f32_e32 v8, v19, v14
	v_add3_u32 v2, 0, v2, v9
	s_delay_alu instid0(VALU_DEP_3) | instskip(NEXT) | instid1(VALU_DEP_3)
	v_fma_f32 v131, -0.5, v75, v39
	v_fma_f32 v129, -0.5, v8, v56
	s_delay_alu instid0(VALU_DEP_2) | instskip(SKIP_3) | instid1(VALU_DEP_4)
	v_dual_sub_f32 v8, v127, v13 :: v_dual_fmamk_f32 v137, v134, 0xbf737871, v131
	v_fmac_f32_e32 v131, 0x3f737871, v134
	v_add_f32_e32 v125, v25, v26
	v_add_f32_e32 v75, v54, v127
	v_fmac_f32_e32 v137, 0xbf167918, v138
	s_delay_alu instid0(VALU_DEP_4) | instskip(NEXT) | instid1(VALU_DEP_4)
	v_fmac_f32_e32 v131, 0x3f167918, v138
	v_fma_f32 v128, -0.5, v125, v54
	v_sub_f32_e32 v125, v126, v6
	v_dual_add_f32 v27, v39, v70 :: v_dual_fmac_f32 v54, -0.5, v143
	s_delay_alu instid0(VALU_DEP_4) | instskip(SKIP_2) | instid1(VALU_DEP_4)
	v_fmac_f32_e32 v131, 0x3e9e377a, v4
	v_fmamk_f32 v132, v8, 0x3f737871, v129
	v_fmac_f32_e32 v129, 0xbf737871, v8
	v_add_f32_e32 v27, v27, v71
	v_fmamk_f32 v135, v125, 0xbf737871, v128
	v_add_f32_e32 v75, v75, v25
	v_sub_f32_e32 v25, v25, v127
	v_fmamk_f32 v127, v136, 0x3f737871, v54
	v_fmac_f32_e32 v128, 0x3f737871, v125
	v_fmac_f32_e32 v129, 0xbf167918, v133
	;; [unrolled: 1-line block ×3, first 2 shown]
	v_add_f32_e32 v75, v75, v26
	v_fmac_f32_e32 v127, 0xbf167918, v125
	v_dual_add_f32 v27, v27, v18 :: v_dual_fmac_f32 v128, 0x3f167918, v136
	v_fmac_f32_e32 v129, 0x3e9e377a, v7
	v_dual_fmac_f32 v135, 0x3e9e377a, v5 :: v_dual_add_f32 v140, v70, v15
	s_delay_alu instid0(VALU_DEP_3)
	v_add_f32_e32 v9, v27, v15
	v_add_f32_e32 v27, v75, v13
	v_sub_f32_e32 v13, v26, v13
	v_add_f32_e32 v26, v126, v6
	v_fmac_f32_e32 v128, 0x3e9e377a, v5
	v_mul_f32_e32 v5, 0xbf167918, v129
	v_dual_fmac_f32 v39, -0.5, v140 :: v_dual_sub_f32 v140, v71, v70
	v_sub_f32_e32 v141, v18, v15
	v_add_f32_e32 v13, v25, v13
	v_add_f32_e32 v25, v56, v126
	v_dual_fmac_f32 v56, -0.5, v26 :: v_dual_fmac_f32 v5, 0xbf4f1bbd, v128
	v_add_f32_e32 v144, v9, v27
	v_add_f32_e32 v140, v140, v141
	v_sub_f32_e32 v26, v19, v126
	s_delay_alu instid0(VALU_DEP_4)
	v_dual_sub_f32 v126, v14, v6 :: v_dual_fmamk_f32 v141, v133, 0xbf737871, v56
	v_sub_f32_e32 v9, v9, v27
	v_add_f32_e32 v27, v131, v5
	v_sub_f32_e32 v5, v131, v5
	v_fmac_f32_e32 v132, 0x3f167918, v133
	v_dual_add_f32 v26, v26, v126 :: v_dual_fmac_f32 v141, 0x3f167918, v8
	v_fmamk_f32 v142, v138, 0x3f737871, v39
	s_delay_alu instid0(VALU_DEP_3) | instskip(SKIP_1) | instid1(VALU_DEP_4)
	v_dual_fmac_f32 v137, 0x3e9e377a, v4 :: v_dual_fmac_f32 v132, 0x3e9e377a, v7
	v_fmac_f32_e32 v127, 0x3e9e377a, v13
	v_fmac_f32_e32 v141, 0x3e9e377a, v26
	s_delay_alu instid0(VALU_DEP_4)
	v_fmac_f32_e32 v142, 0xbf167918, v134
	v_fmac_f32_e32 v39, 0xbf737871, v138
	v_mul_f32_e32 v139, 0xbf167918, v132
	ds_load_b32 v130, v106
	ds_load_b32 v75, v107
	v_dual_mul_f32 v7, 0xbf737871, v141 :: v_dual_fmac_f32 v54, 0xbf737871, v136
	v_fmac_f32_e32 v142, 0x3e9e377a, v140
	v_fmac_f32_e32 v139, 0x3f4f1bbd, v135
	;; [unrolled: 1-line block ×3, first 2 shown]
	s_delay_alu instid0(VALU_DEP_4)
	v_fmac_f32_e32 v7, 0x3e9e377a, v127
	v_fmac_f32_e32 v54, 0x3f167918, v125
	global_wb scope:SCOPE_SE
	s_wait_dscnt 0x0
	v_add_f32_e32 v4, v137, v139
	v_sub_f32_e32 v125, v137, v139
	v_dual_sub_f32 v137, v53, v60 :: v_dual_fmac_f32 v56, 0x3f737871, v133
	v_dual_fmac_f32 v54, 0x3e9e377a, v13 :: v_dual_add_f32 v13, v142, v7
	v_sub_f32_e32 v7, v142, v7
	v_fmac_f32_e32 v39, 0x3e9e377a, v140
	s_delay_alu instid0(VALU_DEP_4)
	v_fmac_f32_e32 v56, 0xbf167918, v8
	s_barrier_signal -1
	s_barrier_wait -1
	global_inv scope:SCOPE_SE
	v_add_f32_e32 v138, v49, v66
	v_fmac_f32_e32 v56, 0x3e9e377a, v26
	v_sub_f32_e32 v140, v57, v66
	v_sub_f32_e32 v149, v71, v18
	v_mul_f32_e32 v129, 0xbf4f1bbd, v129
	s_delay_alu instid0(VALU_DEP_4) | instskip(NEXT) | instid1(VALU_DEP_1)
	v_mul_f32_e32 v8, 0xbf737871, v56
	v_fmac_f32_e32 v8, 0xbe9e377a, v54
	s_delay_alu instid0(VALU_DEP_1)
	v_add_f32_e32 v26, v39, v8
	v_sub_f32_e32 v8, v39, v8
	ds_store_2addr_b32 v2, v144, v4 offset1:9
	ds_store_2addr_b32 v2, v13, v26 offset0:18 offset1:27
	ds_store_2addr_b32 v2, v27, v9 offset0:36 offset1:45
	;; [unrolled: 1-line block ×4, first 2 shown]
	v_sub_f32_e32 v7, v24, v17
	v_sub_f32_e32 v9, v12, v21
	;; [unrolled: 1-line block ×6, first 2 shown]
	v_add_f32_e32 v7, v7, v9
	v_sub_f32_e32 v27, v48, v65
	v_add_f32_e32 v9, v13, v26
	v_dual_add_f32 v13, v30, v49 :: v_dual_add_f32 v26, v59, v62
	v_dual_sub_f32 v39, v17, v21 :: v_dual_add_f32 v144, v24, v12
	s_delay_alu instid0(VALU_DEP_2) | instskip(NEXT) | instid1(VALU_DEP_3)
	v_add_f32_e32 v13, v13, v52
	v_fma_f32 v126, -0.5, v26, v43
	v_sub_f32_e32 v26, v24, v12
	v_sub_f32_e32 v4, v49, v52
	s_delay_alu instid0(VALU_DEP_4) | instskip(NEXT) | instid1(VALU_DEP_1)
	v_add_f32_e32 v13, v13, v57
	v_dual_add_f32 v4, v4, v5 :: v_dual_add_f32 v13, v13, v66
	v_and_b32_e32 v8, 0xffff, v73
	s_delay_alu instid0(VALU_DEP_1) | instskip(SKIP_2) | instid1(VALU_DEP_2)
	v_mul_u32_u24_e32 v5, 0x168, v8
	v_lshlrev_b32_e32 v8, 2, v74
	v_add_f32_e32 v74, v42, v24
	v_add3_u32 v73, 0, v5, v8
	v_add_f32_e32 v5, v52, v57
	v_add_f32_e32 v8, v17, v21
	s_delay_alu instid0(VALU_DEP_2) | instskip(NEXT) | instid1(VALU_DEP_2)
	v_fma_f32 v5, -0.5, v5, v30
	v_fma_f32 v131, -0.5, v8, v42
	v_fmac_f32_e32 v42, -0.5, v144
	v_add_f32_e32 v144, v43, v23
	v_fmac_f32_e32 v30, -0.5, v138
	v_fmamk_f32 v136, v27, 0xbf737871, v5
	v_dual_fmac_f32 v5, 0x3f737871, v27 :: v_dual_sub_f32 v138, v52, v49
	s_delay_alu instid0(VALU_DEP_3) | instskip(SKIP_1) | instid1(VALU_DEP_3)
	v_dual_sub_f32 v52, v52, v57 :: v_dual_fmamk_f32 v143, v137, 0x3f737871, v30
	v_fmac_f32_e32 v30, 0xbf737871, v137
	v_fmac_f32_e32 v5, 0x3f167918, v137
	v_fmamk_f32 v133, v26, 0x3f737871, v126
	v_fmac_f32_e32 v126, 0xbf737871, v26
	v_dual_add_f32 v74, v74, v17 :: v_dual_sub_f32 v17, v17, v24
	s_delay_alu instid0(VALU_DEP_4) | instskip(NEXT) | instid1(VALU_DEP_3)
	v_dual_fmac_f32 v5, 0x3e9e377a, v4 :: v_dual_sub_f32 v24, v37, v50
	v_fmac_f32_e32 v126, 0xbf167918, v39
	v_dual_fmac_f32 v133, 0x3f167918, v39 :: v_dual_add_f32 v138, v138, v140
	v_fmac_f32_e32 v143, 0xbf167918, v27
	v_fmac_f32_e32 v30, 0x3f167918, v27
	s_delay_alu instid0(VALU_DEP_4) | instskip(NEXT) | instid1(VALU_DEP_4)
	v_fmac_f32_e32 v126, 0x3e9e377a, v9
	v_dual_sub_f32 v8, v23, v63 :: v_dual_fmac_f32 v133, 0x3e9e377a, v9
	s_delay_alu instid0(VALU_DEP_4) | instskip(NEXT) | instid1(VALU_DEP_4)
	v_fmac_f32_e32 v143, 0x3e9e377a, v138
	v_fmac_f32_e32 v30, 0x3e9e377a, v138
	s_delay_alu instid0(VALU_DEP_3) | instskip(SKIP_3) | instid1(VALU_DEP_4)
	v_dual_sub_f32 v49, v49, v66 :: v_dual_fmamk_f32 v134, v8, 0xbf737871, v131
	v_fmac_f32_e32 v131, 0x3f737871, v8
	v_mul_f32_e32 v139, 0xbf167918, v133
	v_sub_f32_e32 v66, v48, v53
	v_fmac_f32_e32 v134, 0xbf167918, v125
	s_delay_alu instid0(VALU_DEP_4) | instskip(NEXT) | instid1(VALU_DEP_2)
	v_fmac_f32_e32 v131, 0x3f167918, v125
	v_fmac_f32_e32 v134, 0x3e9e377a, v7
	s_delay_alu instid0(VALU_DEP_2) | instskip(SKIP_2) | instid1(VALU_DEP_4)
	v_fmac_f32_e32 v131, 0x3e9e377a, v7
	v_dual_mul_f32 v7, 0xbf167918, v126 :: v_dual_add_f32 v74, v74, v21
	v_fmac_f32_e32 v129, 0x3f167918, v128
	v_dual_fmac_f32 v139, 0x3f4f1bbd, v134 :: v_dual_mul_f32 v132, 0x3f4f1bbd, v132
	s_delay_alu instid0(VALU_DEP_3) | instskip(SKIP_1) | instid1(VALU_DEP_3)
	v_dual_fmac_f32 v7, 0xbf4f1bbd, v131 :: v_dual_add_f32 v74, v74, v12
	v_dual_sub_f32 v12, v21, v12 :: v_dual_add_f32 v21, v23, v63
	v_fmac_f32_e32 v132, 0x3f167918, v135
	s_delay_alu instid0(VALU_DEP_3) | instskip(NEXT) | instid1(VALU_DEP_3)
	v_add_f32_e32 v142, v13, v74
	v_dual_add_f32 v12, v17, v12 :: v_dual_fmac_f32 v43, -0.5, v21
	v_sub_f32_e32 v17, v59, v23
	v_sub_f32_e32 v21, v62, v63
	v_dual_add_f32 v23, v16, v10 :: v_dual_fmamk_f32 v140, v125, 0x3f737871, v42
	s_delay_alu instid0(VALU_DEP_4) | instskip(SKIP_1) | instid1(VALU_DEP_4)
	v_fmamk_f32 v146, v39, 0xbf737871, v43
	v_fmac_f32_e32 v43, 0x3f737871, v39
	v_add_f32_e32 v17, v17, v21
	v_dual_fmac_f32 v42, 0xbf737871, v125 :: v_dual_sub_f32 v39, v44, v47
	s_delay_alu instid0(VALU_DEP_4) | instskip(NEXT) | instid1(VALU_DEP_4)
	v_fmac_f32_e32 v146, 0x3f167918, v26
	v_dual_fmac_f32 v43, 0xbf167918, v26 :: v_dual_fmac_f32 v140, 0xbf167918, v8
	s_delay_alu instid0(VALU_DEP_3) | instskip(NEXT) | instid1(VALU_DEP_3)
	v_dual_fmac_f32 v42, 0x3f167918, v8 :: v_dual_sub_f32 v125, v46, v55
	v_fmac_f32_e32 v146, 0x3e9e377a, v17
	s_delay_alu instid0(VALU_DEP_3)
	v_fmac_f32_e32 v43, 0x3e9e377a, v17
	v_add_f32_e32 v17, v5, v7
	v_dual_sub_f32 v5, v5, v7 :: v_dual_fmac_f32 v136, 0xbf167918, v137
	v_sub_f32_e32 v7, v22, v16
	v_fma_f32 v137, -0.5, v23, v35
	v_dual_sub_f32 v23, v20, v3 :: v_dual_mul_f32 v8, 0xbf737871, v146
	s_delay_alu instid0(VALU_DEP_4)
	v_fmac_f32_e32 v136, 0x3e9e377a, v4
	v_mul_f32_e32 v9, 0xbf737871, v43
	v_sub_f32_e32 v13, v13, v74
	v_sub_f32_e32 v26, v16, v10
	v_dual_mul_f32 v56, 0xbe9e377a, v56 :: v_dual_mul_f32 v43, 0xbe9e377a, v43
	v_add_f32_e32 v145, v136, v139
	v_sub_f32_e32 v21, v136, v139
	v_fmamk_f32 v139, v23, 0xbf737871, v137
	v_fmac_f32_e32 v42, 0x3e9e377a, v12
	v_fmac_f32_e32 v137, 0x3f737871, v23
	ds_store_2addr_b32 v73, v142, v145 offset1:9
	v_fmac_f32_e32 v56, 0x3f737871, v54
	v_fmac_f32_e32 v139, 0xbf167918, v39
	;; [unrolled: 1-line block ×5, first 2 shown]
	s_delay_alu instid0(VALU_DEP_3) | instskip(NEXT) | instid1(VALU_DEP_3)
	v_fmac_f32_e32 v8, 0x3e9e377a, v140
	v_add_f32_e32 v12, v30, v9
	s_delay_alu instid0(VALU_DEP_2)
	v_add_f32_e32 v4, v143, v8
	v_dual_sub_f32 v8, v143, v8 :: v_dual_add_f32 v143, v22, v11
	ds_store_2addr_b32 v73, v4, v12 offset0:18 offset1:27
	ds_store_2addr_b32 v73, v17, v13 offset0:36 offset1:45
	;; [unrolled: 1-line block ×3, first 2 shown]
	v_mul_u32_u24_e32 v17, 0x168, v67
	v_dual_sub_f32 v4, v38, v40 :: v_dual_lshlrev_b32 v21, 2, v69
	v_sub_f32_e32 v12, v55, v46
	v_sub_f32_e32 v13, v3, v47
	v_add_f32_e32 v67, v38, v55
	s_delay_alu instid0(VALU_DEP_4) | instskip(SKIP_4) | instid1(VALU_DEP_4)
	v_add3_u32 v74, 0, v17, v21
	v_add_f32_e32 v21, v35, v22
	v_add_f32_e32 v17, v44, v47
	v_dual_fmac_f32 v35, -0.5, v143 :: v_dual_sub_f32 v8, v30, v9
	v_sub_f32_e32 v9, v11, v10
	v_add_f32_e32 v21, v21, v16
	s_delay_alu instid0(VALU_DEP_4) | instskip(NEXT) | instid1(VALU_DEP_4)
	v_fma_f32 v136, -0.5, v17, v36
	v_fmamk_f32 v143, v39, 0x3f737871, v35
	v_sub_f32_e32 v17, v22, v11
	v_fmac_f32_e32 v35, 0xbf737871, v39
	v_dual_add_f32 v21, v21, v10 :: v_dual_sub_f32 v10, v10, v11
	s_delay_alu instid0(VALU_DEP_4) | instskip(NEXT) | instid1(VALU_DEP_4)
	v_dual_fmac_f32 v143, 0xbf167918, v23 :: v_dual_sub_f32 v16, v16, v22
	v_fmamk_f32 v138, v17, 0x3f737871, v136
	s_delay_alu instid0(VALU_DEP_3)
	v_add_f32_e32 v21, v21, v11
	v_add_f32_e32 v11, v20, v3
	;; [unrolled: 1-line block ×3, first 2 shown]
	v_sub_f32_e32 v12, v20, v44
	v_sub_f32_e32 v30, v41, v45
	v_fmac_f32_e32 v136, 0xbf737871, v17
	v_add_f32_e32 v7, v7, v9
	s_delay_alu instid0(VALU_DEP_4) | instskip(SKIP_2) | instid1(VALU_DEP_4)
	v_dual_fmac_f32 v35, 0x3f167918, v23 :: v_dual_add_f32 v12, v12, v13
	v_add_f32_e32 v13, v40, v46
	v_add_f32_e32 v9, v29, v38
	v_fmac_f32_e32 v139, 0x3e9e377a, v7
	v_fmac_f32_e32 v137, 0x3e9e377a, v7
	s_delay_alu instid0(VALU_DEP_4) | instskip(NEXT) | instid1(VALU_DEP_4)
	v_fma_f32 v13, -0.5, v13, v29
	v_add_f32_e32 v9, v9, v40
	v_fmac_f32_e32 v29, -0.5, v67
	v_sub_f32_e32 v67, v40, v38
	v_fmac_f32_e32 v43, 0x3f737871, v42
	v_fmamk_f32 v27, v24, 0xbf737871, v13
	v_dual_fmac_f32 v13, 0x3f737871, v24 :: v_dual_add_f32 v10, v16, v10
	v_dual_fmac_f32 v36, -0.5, v11 :: v_dual_sub_f32 v11, v44, v20
	s_delay_alu instid0(VALU_DEP_2) | instskip(SKIP_3) | instid1(VALU_DEP_4)
	v_dual_sub_f32 v16, v47, v3 :: v_dual_fmac_f32 v13, 0x3f167918, v30
	v_add_f32_e32 v9, v9, v46
	v_add_f32_e32 v67, v67, v125
	v_fmac_f32_e32 v27, 0xbf167918, v30
	v_dual_add_f32 v11, v11, v16 :: v_dual_fmac_f32 v136, 0xbf167918, v26
	v_fmac_f32_e32 v138, 0x3f167918, v26
	v_fmamk_f32 v148, v26, 0xbf737871, v36
	v_fmac_f32_e32 v13, 0x3e9e377a, v4
	s_delay_alu instid0(VALU_DEP_4) | instskip(SKIP_1) | instid1(VALU_DEP_4)
	v_dual_add_f32 v9, v9, v55 :: v_dual_fmac_f32 v136, 0x3e9e377a, v12
	v_fmamk_f32 v142, v30, 0x3f737871, v29
	v_fmac_f32_e32 v148, 0x3f167918, v17
	v_fmac_f32_e32 v29, 0xbf737871, v30
	s_delay_alu instid0(VALU_DEP_4) | instskip(SKIP_1) | instid1(VALU_DEP_4)
	v_add_f32_e32 v145, v9, v21
	v_mul_f32_e32 v7, 0xbf167918, v136
	v_dual_sub_f32 v9, v9, v21 :: v_dual_fmac_f32 v148, 0x3e9e377a, v11
	s_delay_alu instid0(VALU_DEP_4) | instskip(SKIP_1) | instid1(VALU_DEP_4)
	v_fmac_f32_e32 v29, 0x3f167918, v24
	v_fmac_f32_e32 v27, 0x3e9e377a, v4
	;; [unrolled: 1-line block ×4, first 2 shown]
	v_dual_fmac_f32 v142, 0xbf167918, v24 :: v_dual_add_f32 v59, v144, v59
	v_add_nc_u32_e32 v30, 0xc00, v106
	v_dual_sub_f32 v38, v38, v55 :: v_dual_sub_f32 v55, v37, v41
	s_delay_alu instid0(VALU_DEP_4) | instskip(NEXT) | instid1(VALU_DEP_1)
	v_dual_fmac_f32 v36, 0xbf167918, v17 :: v_dual_add_f32 v17, v13, v7
	v_fmac_f32_e32 v36, 0x3e9e377a, v11
	s_delay_alu instid0(VALU_DEP_1) | instskip(SKIP_3) | instid1(VALU_DEP_3)
	v_mul_f32_e32 v11, 0xbf737871, v36
	v_dual_fmac_f32 v138, 0x3e9e377a, v12 :: v_dual_fmac_f32 v143, 0x3e9e377a, v10
	v_dual_fmac_f32 v142, 0x3e9e377a, v67 :: v_dual_fmac_f32 v35, 0x3e9e377a, v10
	v_mul_f32_e32 v10, 0xbf737871, v148
	v_mul_f32_e32 v69, 0xbf167918, v138
	s_delay_alu instid0(VALU_DEP_2) | instskip(NEXT) | instid1(VALU_DEP_2)
	v_fmac_f32_e32 v10, 0x3e9e377a, v143
	v_fmac_f32_e32 v69, 0x3f4f1bbd, v139
	;; [unrolled: 1-line block ×3, first 2 shown]
	s_delay_alu instid0(VALU_DEP_3) | instskip(NEXT) | instid1(VALU_DEP_3)
	v_dual_fmac_f32 v11, 0xbe9e377a, v35 :: v_dual_add_f32 v12, v142, v10
	v_add_f32_e32 v4, v27, v69
	v_sub_f32_e32 v20, v27, v69
	s_delay_alu instid0(VALU_DEP_3)
	v_add_f32_e32 v16, v29, v11
	v_sub_f32_e32 v10, v142, v10
	ds_store_2addr_b32 v73, v8, v5 offset0:72 offset1:81
	ds_store_2addr_b32 v74, v145, v4 offset1:9
	ds_store_2addr_b32 v74, v12, v16 offset0:18 offset1:27
	ds_store_2addr_b32 v74, v17, v9 offset0:36 offset1:45
	;; [unrolled: 1-line block ×3, first 2 shown]
	v_add_f32_e32 v5, v64, v68
	v_dual_add_f32 v9, v130, v61 :: v_dual_sub_f32 v4, v29, v11
	v_add_nc_u32_e32 v29, 0x800, v106
	v_sub_f32_e32 v7, v13, v7
	s_delay_alu instid0(VALU_DEP_4)
	v_fma_f32 v145, -0.5, v5, v130
	v_sub_f32_e32 v5, v61, v64
	v_sub_f32_e32 v10, v72, v68
	v_add_f32_e32 v9, v9, v64
	ds_store_2addr_b32 v74, v4, v7 offset0:72 offset1:81
	v_add_f32_e32 v4, v61, v72
	v_dual_sub_f32 v142, v70, v15 :: v_dual_add_f32 v151, v5, v10
	v_add_f32_e32 v5, v9, v68
	s_delay_alu instid0(VALU_DEP_3) | instskip(SKIP_2) | instid1(VALU_DEP_4)
	v_dual_sub_f32 v61, v64, v61 :: v_dual_fmac_f32 v130, -0.5, v4
	v_sub_f32_e32 v64, v68, v72
	v_add_f32_e32 v8, v25, v19
	v_dual_add_f32 v135, v5, v72 :: v_dual_mul_f32 v72, 0x3e9e377a, v141
	s_delay_alu instid0(VALU_DEP_4) | instskip(NEXT) | instid1(VALU_DEP_4)
	v_fmamk_f32 v68, v149, 0xbf737871, v130
	v_dual_add_f32 v61, v61, v64 :: v_dual_fmac_f32 v130, 0x3f737871, v149
	global_wb scope:SCOPE_SE
	s_wait_dscnt 0x0
	v_fmac_f32_e32 v72, 0x3f737871, v127
	v_fmamk_f32 v150, v142, 0x3f737871, v145
	v_fmac_f32_e32 v145, 0xbf737871, v142
	s_barrier_signal -1
	s_barrier_wait -1
	global_inv scope:SCOPE_SE
	ds_load_b32 v71, v106
	ds_load_b32 v70, v107
	;; [unrolled: 1-line block ×4, first 2 shown]
	v_fmac_f32_e32 v145, 0xbf167918, v149
	v_fmac_f32_e32 v68, 0x3f167918, v142
	;; [unrolled: 1-line block ×3, first 2 shown]
	s_delay_alu instid0(VALU_DEP_3) | instskip(NEXT) | instid1(VALU_DEP_3)
	v_dual_add_f32 v8, v8, v14 :: v_dual_fmac_f32 v145, 0x3e9e377a, v151
	v_fmac_f32_e32 v68, 0x3e9e377a, v61
	s_delay_alu instid0(VALU_DEP_3) | instskip(NEXT) | instid1(VALU_DEP_3)
	v_fmac_f32_e32 v130, 0x3e9e377a, v61
	v_add_f32_e32 v152, v8, v6
	ds_load_b32 v125, v124
	ds_load_b32 v39, v123
	ds_load_2addr_b32 v[24:25], v109 offset0:56 offset1:164
	ds_load_2addr_b32 v[16:17], v118 offset0:104 offset1:212
	;; [unrolled: 1-line block ×9, first 2 shown]
	v_dual_add_f32 v61, v68, v72 :: v_dual_fmac_f32 v150, 0x3f167918, v149
	v_add_f32_e32 v127, v130, v56
	v_add_f32_e32 v64, v135, v152
	v_dual_sub_f32 v128, v135, v152 :: v_dual_add_f32 v135, v145, v129
	s_delay_alu instid0(VALU_DEP_4)
	v_fmac_f32_e32 v150, 0x3e9e377a, v151
	ds_load_2addr_b32 v[22:23], v30 offset0:96 offset1:204
	ds_load_2addr_b32 v[10:11], v120 offset0:24 offset1:132
	;; [unrolled: 1-line block ×3, first 2 shown]
	global_wb scope:SCOPE_SE
	s_wait_dscnt 0x0
	v_add_f32_e32 v54, v150, v132
	s_barrier_signal -1
	s_barrier_wait -1
	global_inv scope:SCOPE_SE
	ds_store_2addr_b32 v2, v64, v54 offset1:9
	ds_store_2addr_b32 v2, v61, v127 offset0:18 offset1:27
	ds_store_2addr_b32 v2, v135, v128 offset0:36 offset1:45
	v_add_f32_e32 v64, v75, v48
	v_dual_add_f32 v127, v53, v60 :: v_dual_add_f32 v128, v48, v65
	v_sub_f32_e32 v48, v53, v48
	v_sub_f32_e32 v61, v68, v72
	s_delay_alu instid0(VALU_DEP_4) | instskip(SKIP_3) | instid1(VALU_DEP_1)
	v_add_f32_e32 v64, v64, v53
	v_sub_f32_e32 v40, v40, v46
	v_add_f32_e32 v44, v147, v44
	v_mul_f32_e32 v36, 0xbe9e377a, v36
	v_dual_add_f32 v57, v64, v60 :: v_dual_fmac_f32 v36, 0x3f737871, v35
	s_delay_alu instid0(VALU_DEP_1) | instskip(SKIP_1) | instid1(VALU_DEP_1)
	v_add_f32_e32 v53, v57, v65
	v_sub_f32_e32 v57, v60, v65
	v_dual_add_f32 v48, v48, v57 :: v_dual_mul_f32 v57, 0xbf4f1bbd, v126
	s_delay_alu instid0(VALU_DEP_1) | instskip(SKIP_1) | instid1(VALU_DEP_1)
	v_dual_sub_f32 v54, v150, v132 :: v_dual_fmac_f32 v57, 0x3f167918, v131
	v_sub_f32_e32 v72, v65, v60
	v_add_f32_e32 v64, v66, v72
	v_fma_f32 v66, -0.5, v127, v75
	s_delay_alu instid0(VALU_DEP_1) | instskip(SKIP_1) | instid1(VALU_DEP_2)
	v_fmamk_f32 v60, v49, 0x3f737871, v66
	v_fmac_f32_e32 v66, 0xbf737871, v49
	v_fmac_f32_e32 v60, 0x3f167918, v52
	s_delay_alu instid0(VALU_DEP_2) | instskip(NEXT) | instid1(VALU_DEP_2)
	v_fmac_f32_e32 v66, 0xbf167918, v52
	v_fmac_f32_e32 v60, 0x3e9e377a, v64
	s_delay_alu instid0(VALU_DEP_2) | instskip(SKIP_1) | instid1(VALU_DEP_1)
	v_fmac_f32_e32 v66, 0x3e9e377a, v64
	v_sub_f32_e32 v64, v50, v45
	v_add_f32_e32 v55, v55, v64
	v_fmac_f32_e32 v75, -0.5, v128
	s_delay_alu instid0(VALU_DEP_1) | instskip(SKIP_2) | instid1(VALU_DEP_3)
	v_fmamk_f32 v65, v52, 0xbf737871, v75
	v_fmac_f32_e32 v75, 0x3f737871, v52
	v_mul_f32_e32 v52, 0x3e9e377a, v146
	v_fmac_f32_e32 v65, 0x3f167918, v49
	s_delay_alu instid0(VALU_DEP_3) | instskip(NEXT) | instid1(VALU_DEP_3)
	v_fmac_f32_e32 v75, 0xbf167918, v49
	v_dual_add_f32 v49, v59, v62 :: v_dual_fmac_f32 v52, 0x3f737871, v140
	s_delay_alu instid0(VALU_DEP_3) | instskip(NEXT) | instid1(VALU_DEP_2)
	v_dual_add_f32 v62, v34, v37 :: v_dual_fmac_f32 v65, 0x3e9e377a, v48
	v_add_f32_e32 v49, v49, v63
	v_add_f32_e32 v63, v66, v57
	v_sub_f32_e32 v57, v66, v57
	s_delay_alu instid0(VALU_DEP_4)
	v_add_f32_e32 v59, v65, v52
	v_sub_f32_e32 v52, v65, v52
	v_add_f32_e32 v62, v62, v41
	v_add_f32_e32 v65, v41, v45
	v_add_f32_e32 v66, v37, v50
	v_sub_f32_e32 v37, v41, v37
	v_add_f32_e32 v42, v53, v49
	v_add_f32_e32 v46, v62, v45
	v_fma_f32 v62, -0.5, v65, v34
	v_fmac_f32_e32 v34, -0.5, v66
	v_sub_f32_e32 v45, v45, v50
	v_sub_f32_e32 v49, v53, v49
	v_add_f32_e32 v41, v46, v50
	v_fmamk_f32 v46, v38, 0x3f737871, v62
	v_fmamk_f32 v50, v40, 0xbf737871, v34
	v_fmac_f32_e32 v34, 0x3f737871, v40
	v_dual_fmac_f32 v62, 0xbf737871, v38 :: v_dual_add_f32 v37, v37, v45
	s_delay_alu instid0(VALU_DEP_4) | instskip(NEXT) | instid1(VALU_DEP_4)
	v_fmac_f32_e32 v46, 0x3f167918, v40
	v_fmac_f32_e32 v50, 0x3f167918, v38
	s_delay_alu instid0(VALU_DEP_4)
	v_fmac_f32_e32 v34, 0xbf167918, v38
	v_add_f32_e32 v38, v44, v47
	v_fmac_f32_e32 v62, 0xbf167918, v40
	v_mul_f32_e32 v40, 0x3e9e377a, v148
	v_fmac_f32_e32 v50, 0x3e9e377a, v37
	v_fmac_f32_e32 v34, 0x3e9e377a, v37
	v_mul_f32_e32 v37, 0x3f4f1bbd, v138
	v_add_f32_e32 v3, v38, v3
	v_fmac_f32_e32 v40, 0x3f737871, v143
	v_fmac_f32_e32 v46, 0x3e9e377a, v55
	;; [unrolled: 1-line block ×5, first 2 shown]
	v_dual_mul_f32 v48, 0x3f4f1bbd, v133 :: v_dual_add_f32 v45, v50, v40
	v_add_f32_e32 v35, v41, v3
	v_sub_f32_e32 v41, v41, v3
	v_add_nc_u32_e32 v3, 0xffffffa6, v98
	s_delay_alu instid0(VALU_DEP_4)
	v_fmac_f32_e32 v48, 0x3f167918, v134
	v_sub_f32_e32 v56, v130, v56
	v_add_f32_e32 v44, v46, v37
	v_mul_f32_e32 v38, 0xbf4f1bbd, v136
	s_wait_alu 0xf1ff
	v_cndmask_b32_e64 v55, v3, v98, s0
	v_dual_mov_b32 v3, 0 :: v_dual_sub_f32 v68, v145, v129
	v_add_f32_e32 v53, v60, v48
	v_sub_f32_e32 v48, v60, v48
	v_add_f32_e32 v60, v75, v43
	v_sub_f32_e32 v43, v75, v43
	ds_store_2addr_b32 v2, v54, v61 offset0:54 offset1:63
	ds_store_2addr_b32 v2, v56, v68 offset0:72 offset1:81
	v_mul_i32_i24_e32 v2, 5, v55
	v_lshrrev_b16 v54, 14, v33
	ds_store_2addr_b32 v73, v42, v53 offset1:9
	ds_store_2addr_b32 v73, v59, v60 offset0:18 offset1:27
	ds_store_2addr_b32 v73, v63, v49 offset0:36 offset1:45
	;; [unrolled: 1-line block ×4, first 2 shown]
	ds_store_2addr_b32 v74, v35, v44 offset1:9
	v_mul_u32_u24_e32 v35, 0x2d83, v32
	v_lshlrev_b64_e32 v[32:33], 3, v[2:3]
	v_mul_lo_u16 v2, 0x5a, v54
	v_fmac_f32_e32 v38, 0x3f167918, v137
	v_sub_f32_e32 v37, v46, v37
	v_add_f32_e32 v46, v34, v36
	v_sub_f32_e32 v40, v50, v40
	v_sub_nc_u16 v2, v101, v2
	v_add_f32_e32 v47, v62, v38
	v_sub_f32_e32 v34, v34, v36
	v_sub_f32_e32 v36, v62, v38
	v_lshrrev_b32_e32 v43, 20, v35
	v_and_b32_e32 v75, 0xff, v2
	ds_store_2addr_b32 v74, v45, v46 offset0:18 offset1:27
	ds_store_2addr_b32 v74, v47, v41 offset0:36 offset1:45
	;; [unrolled: 1-line block ×4, first 2 shown]
	v_add_co_u32 v36, s0, s4, v32
	v_mul_lo_u16 v34, 0x5a, v43
	s_wait_alu 0xf1ff
	v_add_co_ci_u32_e64 v37, s0, s5, v33, s0
	v_mul_u32_u24_e32 v38, 5, v75
	global_wb scope:SCOPE_SE
	s_wait_dscnt 0x0
	v_sub_nc_u16 v2, v102, v34
	s_barrier_signal -1
	s_barrier_wait -1
	global_inv scope:SCOPE_SE
	global_load_b128 v[32:35], v[36:37], off offset:696
	v_lshlrev_b32_e32 v38, 3, v38
	v_and_b32_e32 v63, 0xffff, v2
	v_mul_lo_u16 v2, 0x5a, v31
	v_cmp_lt_u32_e64 s0, 0x59, v98
	global_load_b128 v[126:129], v38, s[4:5] offset:696
	v_mul_u32_u24_e32 v40, 5, v63
	v_sub_nc_u16 v2, v103, v2
	s_delay_alu instid0(VALU_DEP_2) | instskip(NEXT) | instid1(VALU_DEP_2)
	v_lshlrev_b32_e32 v40, 3, v40
	v_and_b32_e32 v66, 0xffff, v2
	v_mul_lo_u16 v2, 0x5a, v28
	global_load_b128 v[130:133], v40, s[4:5] offset:696
	v_mul_u32_u24_e32 v41, 5, v66
	v_sub_nc_u16 v2, v104, v2
	s_delay_alu instid0(VALU_DEP_2) | instskip(NEXT) | instid1(VALU_DEP_2)
	v_lshlrev_b32_e32 v41, 3, v41
	v_and_b32_e32 v46, 0xffff, v2
	global_load_b128 v[134:137], v41, s[4:5] offset:696
	v_mul_u32_u24_e32 v2, 5, v46
	s_delay_alu instid0(VALU_DEP_1)
	v_lshlrev_b32_e32 v2, 3, v2
	s_clause 0xa
	global_load_b128 v[138:141], v2, s[4:5] offset:696
	global_load_b128 v[142:145], v[36:37], off offset:712
	global_load_b128 v[146:149], v38, s[4:5] offset:712
	global_load_b128 v[150:153], v40, s[4:5] offset:712
	;; [unrolled: 1-line block ×4, first 2 shown]
	global_load_b64 v[72:73], v[36:37], off offset:728
	global_load_b64 v[162:163], v38, s[4:5] offset:728
	global_load_b64 v[164:165], v40, s[4:5] offset:728
	;; [unrolled: 1-line block ×4, first 2 shown]
	ds_load_b32 v38, v124
	ds_load_2addr_b32 v[36:37], v109 offset0:56 offset1:164
	ds_load_2addr_b32 v[40:41], v29 offset0:136 offset1:244
	ds_load_b32 v2, v123
	ds_load_2addr_b32 v[61:62], v111 offset0:16 offset1:124
	s_wait_loadcnt_dscnt 0xe04
	v_mul_f32_e32 v52, v38, v33
	s_wait_dscnt 0x3
	v_dual_mul_f32 v33, v125, v33 :: v_dual_mul_f32 v74, v36, v35
	s_delay_alu instid0(VALU_DEP_2) | instskip(NEXT) | instid1(VALU_DEP_2)
	v_dual_mul_f32 v35, v24, v35 :: v_dual_fmac_f32 v52, v125, v32
	v_fma_f32 v60, v38, v32, -v33
	s_wait_loadcnt 0xd
	v_mul_f32_e32 v49, v37, v129
	v_mul_f32_e32 v38, v25, v129
	s_wait_dscnt 0x2
	v_mul_f32_e32 v44, v40, v127
	ds_load_2addr_b32 v[32:33], v30 offset0:96 offset1:204
	v_dual_fmac_f32 v74, v24, v34 :: v_dual_fmac_f32 v49, v25, v128
	v_mul_f32_e32 v25, v20, v127
	v_fma_f32 v57, v37, v128, -v38
	ds_load_2addr_b32 v[127:128], v118 offset0:104 offset1:212
	v_fma_f32 v24, v36, v34, -v35
	s_wait_loadcnt_dscnt 0xc02
	v_mul_f32_e32 v45, v61, v133
	v_fma_f32 v48, v40, v126, -v25
	v_mul_f32_e32 v25, v26, v133
	s_delay_alu instid0(VALU_DEP_3) | instskip(NEXT) | instid1(VALU_DEP_2)
	v_fmac_f32_e32 v45, v26, v132
	v_fma_f32 v50, v61, v132, -v25
	s_wait_loadcnt 0xb
	v_dual_mul_f32 v26, v27, v137 :: v_dual_mul_f32 v35, v22, v135
	s_wait_loadcnt 0x8
	v_mul_f32_e32 v47, v13, v149
	s_wait_dscnt 0x1
	s_delay_alu instid0(VALU_DEP_2) | instskip(SKIP_3) | instid1(VALU_DEP_2)
	v_fma_f32 v38, v32, v134, -v35
	s_wait_dscnt 0x0
	v_mul_f32_e32 v129, v128, v143
	v_mul_f32_e32 v35, v127, v141
	v_dual_fmac_f32 v129, v17, v142 :: v_dual_mul_f32 v40, v62, v137
	v_mul_f32_e32 v36, v41, v131
	v_dual_mul_f32 v17, v17, v143 :: v_dual_fmac_f32 v44, v20, v126
	s_delay_alu instid0(VALU_DEP_4) | instskip(NEXT) | instid1(VALU_DEP_4)
	v_fmac_f32_e32 v35, v16, v140
	v_dual_fmac_f32 v40, v27, v136 :: v_dual_mul_f32 v27, v16, v141
	s_delay_alu instid0(VALU_DEP_4)
	v_fmac_f32_e32 v36, v21, v130
	ds_load_2addr_b32 v[125:126], v120 offset0:24 offset1:132
	v_fma_f32 v37, v127, v140, -v27
	v_fma_f32 v127, v128, v142, -v17
	v_mul_f32_e32 v34, v21, v131
	ds_load_2addr_b32 v[20:21], v110 offset0:112 offset1:220
	v_mul_f32_e32 v27, v12, v145
	s_wait_loadcnt 0x7
	v_mul_f32_e32 v17, v19, v151
	v_fma_f32 v42, v41, v130, -v34
	v_fma_f32 v41, v62, v136, -v26
	ds_load_2addr_b32 v[25:26], v117 offset0:64 offset1:172
	v_mul_f32_e32 v34, v32, v135
	s_delay_alu instid0(VALU_DEP_1)
	v_fmac_f32_e32 v34, v22, v134
	v_mul_f32_e32 v22, v23, v139
	s_wait_dscnt 0x1
	v_mul_f32_e32 v16, v20, v145
	v_mul_f32_e32 v65, v21, v149
	v_fma_f32 v68, v21, v148, -v47
	s_wait_loadcnt 0x6
	s_delay_alu instid0(VALU_DEP_3)
	v_dual_mul_f32 v47, v15, v157 :: v_dual_fmac_f32 v16, v12, v144
	v_fma_f32 v12, v20, v144, -v27
	v_mul_f32_e32 v32, v33, v139
	v_fma_f32 v33, v33, v138, -v22
	s_wait_dscnt 0x0
	v_mul_f32_e32 v27, v25, v147
	v_mul_f32_e32 v128, v26, v151
	ds_load_2addr_b32 v[20:21], v119 offset0:32 offset1:140
	v_fmac_f32_e32 v32, v23, v138
	ds_load_2addr_b32 v[22:23], v112 offset0:72 offset1:180
	v_fmac_f32_e32 v65, v13, v148
	v_mul_f32_e32 v13, v18, v147
	v_fmac_f32_e32 v27, v18, v146
	v_fmac_f32_e32 v128, v19, v150
	ds_load_2addr_b32 v[18:19], v115 offset0:120 offset1:228
	v_fma_f32 v26, v26, v150, -v17
	v_fma_f32 v25, v25, v146, -v13
	v_mul_f32_e32 v13, v14, v153
	s_delay_alu instid0(VALU_DEP_3) | instskip(NEXT) | instid1(VALU_DEP_1)
	v_dual_mul_f32 v17, v125, v155 :: v_dual_add_f32 v138, v42, v26
	v_fmac_f32_e32 v17, v10, v154
	s_wait_loadcnt_dscnt 0x502
	v_dual_mul_f32 v10, v10, v155 :: v_dual_mul_f32 v53, v20, v161
	s_wait_dscnt 0x1
	v_mul_f32_e32 v61, v22, v153
	v_mul_f32_e32 v56, v23, v157
	v_fma_f32 v62, v22, v152, -v13
	v_fma_f32 v59, v23, v156, -v47
	ds_load_2addr_b32 v[22:23], v121 offset0:80 offset1:188
	v_dual_mul_f32 v47, v6, v161 :: v_dual_fmac_f32 v56, v15, v156
	v_mul_f32_e32 v15, v11, v159
	v_fmac_f32_e32 v61, v14, v152
	v_mul_f32_e32 v13, v126, v159
	v_fma_f32 v14, v125, v154, -v10
	v_fmac_f32_e32 v53, v6, v160
	v_fma_f32 v10, v126, v158, -v15
	v_fma_f32 v47, v20, v160, -v47
	s_wait_loadcnt_dscnt 0x301
	v_dual_mul_f32 v6, v7, v73 :: v_dual_mul_f32 v15, v18, v163
	v_mul_f32_e32 v20, v8, v163
	s_wait_loadcnt 0x2
	v_mul_f32_e32 v126, v19, v165
	v_fmac_f32_e32 v13, v11, v158
	v_mul_f32_e32 v11, v21, v73
	v_fma_f32 v6, v21, v72, -v6
	v_fmac_f32_e32 v15, v8, v162
	v_fma_f32 v125, v18, v162, -v20
	v_mul_f32_e32 v18, v9, v165
	s_wait_loadcnt 0x1
	v_dual_fmac_f32 v126, v9, v164 :: v_dual_mul_f32 v9, v4, v167
	s_wait_dscnt 0x0
	v_dual_fmac_f32 v11, v7, v72 :: v_dual_mul_f32 v8, v22, v167
	s_wait_loadcnt 0x0
	v_mul_f32_e32 v7, v23, v169
	v_fma_f32 v73, v19, v164, -v18
	v_fma_f32 v64, v22, v166, -v9
	v_dual_add_f32 v9, v127, v6 :: v_dual_mul_f32 v18, v5, v169
	s_delay_alu instid0(VALU_DEP_4) | instskip(SKIP_2) | instid1(VALU_DEP_4)
	v_dual_fmac_f32 v8, v4, v166 :: v_dual_fmac_f32 v7, v5, v168
	v_add_f32_e32 v5, v129, v11
	v_add_f32_e32 v4, v60, v127
	v_dual_fmac_f32 v60, -0.5, v9 :: v_dual_sub_f32 v9, v129, v11
	v_fma_f32 v72, v23, v168, -v18
	v_dual_add_f32 v18, v74, v16 :: v_dual_add_f32 v19, v52, v129
	v_dual_fmac_f32 v52, -0.5, v5 :: v_dual_sub_f32 v5, v127, v6
	s_delay_alu instid0(VALU_DEP_4) | instskip(NEXT) | instid1(VALU_DEP_3)
	v_dual_fmamk_f32 v20, v9, 0x3f5db3d7, v60 :: v_dual_add_f32 v21, v71, v74
	v_dual_fmac_f32 v71, -0.5, v18 :: v_dual_lshlrev_b32 v22, 2, v55
	s_delay_alu instid0(VALU_DEP_3) | instskip(NEXT) | instid1(VALU_DEP_3)
	v_fmamk_f32 v55, v5, 0xbf5db3d7, v52
	v_mul_f32_e32 v127, 0xbf5db3d7, v20
	v_add_f32_e32 v11, v19, v11
	v_sub_f32_e32 v19, v24, v12
	s_wait_alu 0xf1ff
	v_cndmask_b32_e64 v23, 0, 0x870, s0
	v_dual_fmac_f32 v60, 0xbf5db3d7, v9 :: v_dual_fmac_f32 v127, 0.5, v55
	ds_load_b32 v130, v106
	ds_load_b32 v131, v107
	;; [unrolled: 1-line block ×3, first 2 shown]
	v_fmamk_f32 v9, v19, 0xbf5db3d7, v71
	v_fmac_f32_e32 v71, 0x3f5db3d7, v19
	v_add_f32_e32 v19, v25, v125
	v_add3_u32 v129, 0, v23, v22
	v_add_f32_e32 v23, v27, v15
	v_add_f32_e32 v22, v9, v127
	v_sub_f32_e32 v9, v9, v127
	v_dual_add_f32 v127, v48, v25 :: v_dual_fmac_f32 v48, -0.5, v19
	v_sub_f32_e32 v19, v27, v15
	v_add_f32_e32 v27, v44, v27
	v_dual_fmac_f32 v44, -0.5, v23 :: v_dual_sub_f32 v25, v25, v125
	ds_load_b32 v133, v122
	v_fmamk_f32 v135, v19, 0x3f5db3d7, v48
	v_dual_add_f32 v15, v27, v15 :: v_dual_add_f32 v18, v21, v16
	v_fmac_f32_e32 v48, 0xbf5db3d7, v19
	global_wb scope:SCOPE_SE
	s_wait_dscnt 0x0
	s_barrier_signal -1
	s_barrier_wait -1
	v_add_f32_e32 v21, v18, v11
	global_inv scope:SCOPE_SE
	v_and_b32_e32 v23, 0xffff, v54
	v_fmamk_f32 v136, v25, 0xbf5db3d7, v44
	v_fmac_f32_e32 v44, 0x3f5db3d7, v25
	v_mul_f32_e32 v25, 0xbf5db3d7, v48
	ds_store_2addr_b32 v129, v21, v22 offset1:90
	v_add_f32_e32 v21, v49, v65
	v_dual_add_f32 v22, v70, v49 :: v_dual_sub_f32 v27, v57, v68
	v_dual_fmac_f32 v25, -0.5, v44 :: v_dual_lshlrev_b32 v54, 2, v75
	s_delay_alu instid0(VALU_DEP_3) | instskip(SKIP_3) | instid1(VALU_DEP_4)
	v_fmac_f32_e32 v70, -0.5, v21
	v_mul_u32_u24_e32 v21, 0x870, v23
	v_mul_f32_e32 v23, 0xbf5db3d7, v135
	v_fmac_f32_e32 v52, 0x3f5db3d7, v5
	v_dual_add_f32 v19, v22, v65 :: v_dual_fmamk_f32 v22, v27, 0xbf5db3d7, v70
	s_delay_alu instid0(VALU_DEP_3) | instskip(SKIP_2) | instid1(VALU_DEP_4)
	v_dual_fmac_f32 v23, 0.5, v136 :: v_dual_add_nc_u32 v134, 0x200, v129
	v_mul_f32_e32 v5, 0xbf5db3d7, v60
	v_add3_u32 v75, 0, v21, v54
	v_add_f32_e32 v21, v19, v15
	v_sub_f32_e32 v11, v18, v11
	s_delay_alu instid0(VALU_DEP_4) | instskip(NEXT) | instid1(VALU_DEP_4)
	v_dual_add_f32 v54, v22, v23 :: v_dual_fmac_f32 v5, -0.5, v52
	v_dual_add_f32 v140, v38, v14 :: v_dual_add_nc_u32 v137, 0x200, v75
	v_mul_f32_e32 v150, 0.5, v20
	v_add_f32_e32 v152, v4, v6
	s_delay_alu instid0(VALU_DEP_4)
	v_add_f32_e32 v18, v71, v5
	v_sub_f32_e32 v5, v71, v5
	v_add_nc_u32_e32 v71, 0x400, v129
	ds_store_2addr_b32 v134, v18, v11 offset0:52 offset1:142
	ds_store_2addr_b32 v71, v9, v5 offset0:104 offset1:194
	ds_store_2addr_b32 v75, v21, v54 offset1:90
	v_sub_f32_e32 v5, v19, v15
	v_sub_f32_e32 v11, v22, v23
	v_add_f32_e32 v18, v26, v73
	v_add_f32_e32 v19, v45, v61
	;; [unrolled: 1-line block ×3, first 2 shown]
	v_dual_add_f32 v23, v36, v128 :: v_dual_add_f32 v22, v69, v45
	s_delay_alu instid0(VALU_DEP_3) | instskip(NEXT) | instid1(VALU_DEP_3)
	v_dual_sub_f32 v74, v74, v16 :: v_dual_fmac_f32 v69, -0.5, v19
	v_fmac_f32_e32 v36, -0.5, v21
	v_sub_f32_e32 v21, v26, v73
	s_delay_alu instid0(VALU_DEP_4)
	v_add_f32_e32 v19, v23, v126
	v_fmac_f32_e32 v42, -0.5, v18
	v_sub_f32_e32 v18, v128, v126
	v_mul_u32_u24_e32 v23, 0x870, v43
	v_fmamk_f32 v126, v21, 0xbf5db3d7, v36
	v_fmac_f32_e32 v70, 0x3f5db3d7, v27
	s_delay_alu instid0(VALU_DEP_4) | instskip(SKIP_1) | instid1(VALU_DEP_3)
	v_dual_fmamk_f32 v128, v18, 0x3f5db3d7, v42 :: v_dual_lshlrev_b32 v27, 2, v63
	v_fmac_f32_e32 v36, 0x3f5db3d7, v21
	v_dual_fmac_f32 v150, 0x3f5db3d7, v55 :: v_dual_add_f32 v9, v70, v25
	v_sub_f32_e32 v15, v70, v25
	s_delay_alu instid0(VALU_DEP_4) | instskip(SKIP_3) | instid1(VALU_DEP_4)
	v_mul_f32_e32 v25, 0xbf5db3d7, v128
	v_add3_u32 v63, 0, v23, v27
	v_sub_f32_e32 v26, v50, v62
	v_mul_f32_e32 v60, -0.5, v60
	v_dual_mul_f32 v48, -0.5, v48 :: v_dual_fmac_f32 v25, 0.5, v126
	s_delay_alu instid0(VALU_DEP_4) | instskip(SKIP_1) | instid1(VALU_DEP_4)
	v_add_nc_u32_e32 v139, 0x200, v63
	v_fmac_f32_e32 v42, 0xbf5db3d7, v18
	v_fmac_f32_e32 v60, 0x3f5db3d7, v52
	v_add_f32_e32 v52, v131, v57
	v_dual_sub_f32 v49, v49, v65 :: v_dual_fmac_f32 v48, 0x3f5db3d7, v44
	s_delay_alu instid0(VALU_DEP_4) | instskip(SKIP_2) | instid1(VALU_DEP_3)
	v_dual_mul_f32 v21, 0xbf5db3d7, v42 :: v_dual_add_f32 v18, v22, v61
	v_fmamk_f32 v22, v26, 0xbf5db3d7, v69
	v_fmac_f32_e32 v69, 0x3f5db3d7, v26
	v_dual_fmac_f32 v21, -0.5, v36 :: v_dual_add_nc_u32 v70, 0x400, v75
	s_delay_alu instid0(VALU_DEP_4) | instskip(NEXT) | instid1(VALU_DEP_4)
	v_add_f32_e32 v23, v18, v19
	v_add_f32_e32 v27, v22, v25
	ds_store_2addr_b32 v137, v9, v5 offset0:52 offset1:142
	ds_store_2addr_b32 v70, v11, v15 offset0:104 offset1:194
	ds_store_2addr_b32 v63, v23, v27 offset1:90
	v_add_f32_e32 v9, v69, v21
	v_sub_f32_e32 v15, v69, v21
	v_add_nc_u32_e32 v69, 0x400, v63
	v_sub_f32_e32 v5, v18, v19
	v_add_f32_e32 v19, v14, v64
	v_dual_add_f32 v18, v40, v56 :: v_dual_add_f32 v23, v34, v17
	v_add_f32_e32 v21, v67, v40
	v_dual_sub_f32 v11, v22, v25 :: v_dual_add_f32 v22, v17, v8
	s_delay_alu instid0(VALU_DEP_3)
	v_dual_fmac_f32 v67, -0.5, v18 :: v_dual_fmac_f32 v38, -0.5, v19
	v_lshlrev_b32_e32 v19, 2, v66
	v_sub_f32_e32 v17, v17, v8
	v_add_f32_e32 v8, v23, v8
	v_mul_u32_u24_e32 v18, 0x870, v31
	v_add_f32_e32 v21, v21, v56
	s_delay_alu instid0(VALU_DEP_4)
	v_dual_add_f32 v52, v52, v68 :: v_dual_fmamk_f32 v141, v17, 0x3f5db3d7, v38
	v_fmac_f32_e32 v34, -0.5, v22
	v_fmac_f32_e32 v38, 0xbf5db3d7, v17
	v_sub_f32_e32 v22, v41, v59
	v_add3_u32 v142, 0, v18, v19
	v_dual_mul_f32 v17, 0xbf5db3d7, v141 :: v_dual_sub_f32 v14, v14, v64
	s_delay_alu instid0(VALU_DEP_3) | instskip(SKIP_1) | instid1(VALU_DEP_4)
	v_dual_add_f32 v18, v21, v8 :: v_dual_fmamk_f32 v23, v22, 0xbf5db3d7, v67
	v_dual_fmac_f32 v67, 0x3f5db3d7, v22 :: v_dual_sub_f32 v8, v21, v8
	v_add_nc_u32_e32 v143, 0x200, v142
	s_delay_alu instid0(VALU_DEP_4) | instskip(SKIP_1) | instid1(VALU_DEP_2)
	v_fmamk_f32 v66, v14, 0xbf5db3d7, v34
	v_mul_f32_e32 v42, -0.5, v42
	v_dual_sub_f32 v40, v40, v56 :: v_dual_fmac_f32 v17, 0.5, v66
	v_fmac_f32_e32 v34, 0x3f5db3d7, v14
	v_mul_f32_e32 v14, 0xbf5db3d7, v38
	s_delay_alu instid0(VALU_DEP_4) | instskip(NEXT) | instid1(VALU_DEP_4)
	v_fmac_f32_e32 v42, 0x3f5db3d7, v36
	v_dual_mul_f32 v38, -0.5, v38 :: v_dual_add_f32 v19, v23, v17
	s_delay_alu instid0(VALU_DEP_3) | instskip(NEXT) | instid1(VALU_DEP_2)
	v_dual_sub_f32 v17, v23, v17 :: v_dual_fmac_f32 v14, -0.5, v34
	v_fmac_f32_e32 v38, 0x3f5db3d7, v34
	s_delay_alu instid0(VALU_DEP_2)
	v_add_f32_e32 v21, v67, v14
	v_sub_f32_e32 v14, v67, v14
	v_add_nc_u32_e32 v67, 0x400, v142
	ds_store_2addr_b32 v139, v9, v5 offset0:52 offset1:142
	ds_store_2addr_b32 v69, v11, v15 offset0:104 offset1:194
	ds_store_2addr_b32 v142, v18, v19 offset1:90
	ds_store_2addr_b32 v143, v21, v8 offset0:52 offset1:142
	ds_store_2addr_b32 v67, v17, v14 offset0:104 offset1:194
	v_dual_add_f32 v8, v10, v72 :: v_dual_add_f32 v5, v35, v53
	v_dual_add_f32 v9, v39, v35 :: v_dual_add_f32 v14, v32, v13
	v_add_f32_e32 v11, v13, v7
	s_delay_alu instid0(VALU_DEP_3) | instskip(NEXT) | instid1(VALU_DEP_4)
	v_dual_add_f32 v144, v33, v10 :: v_dual_fmac_f32 v33, -0.5, v8
	v_dual_sub_f32 v8, v13, v7 :: v_dual_fmac_f32 v39, -0.5, v5
	s_delay_alu instid0(VALU_DEP_3) | instskip(SKIP_2) | instid1(VALU_DEP_4)
	v_fmac_f32_e32 v32, -0.5, v11
	v_add_f32_e32 v5, v14, v7
	v_sub_f32_e32 v7, v10, v72
	v_fmamk_f32 v145, v8, 0x3f5db3d7, v33
	v_mul_u32_u24_e32 v10, 0x870, v28
	v_sub_f32_e32 v35, v35, v53
	s_delay_alu instid0(VALU_DEP_4) | instskip(SKIP_2) | instid1(VALU_DEP_2)
	v_dual_fmamk_f32 v146, v7, 0xbf5db3d7, v32 :: v_dual_fmac_f32 v33, 0xbf5db3d7, v8
	v_dual_fmac_f32 v32, 0x3f5db3d7, v7 :: v_dual_lshlrev_b32 v11, 2, v46
	v_mul_f32_e32 v8, 0xbf5db3d7, v145
	v_add3_u32 v147, 0, v10, v11
	s_delay_alu instid0(VALU_DEP_2) | instskip(SKIP_1) | instid1(VALU_DEP_3)
	v_dual_fmac_f32 v8, 0.5, v146 :: v_dual_sub_f32 v13, v37, v47
	v_mul_f32_e32 v7, 0xbf5db3d7, v33
	v_dual_add_f32 v9, v9, v53 :: v_dual_add_nc_u32 v148, 0x200, v147
	s_delay_alu instid0(VALU_DEP_3) | instskip(NEXT) | instid1(VALU_DEP_2)
	v_dual_mul_f32 v33, -0.5, v33 :: v_dual_fmamk_f32 v14, v13, 0xbf5db3d7, v39
	v_dual_fmac_f32 v7, -0.5, v32 :: v_dual_add_f32 v10, v9, v5
	v_sub_f32_e32 v5, v9, v5
	s_delay_alu instid0(VALU_DEP_3) | instskip(NEXT) | instid1(VALU_DEP_4)
	v_fmac_f32_e32 v33, 0x3f5db3d7, v32
	v_add_f32_e32 v11, v14, v8
	v_dual_sub_f32 v8, v14, v8 :: v_dual_fmac_f32 v39, 0x3f5db3d7, v13
	ds_store_2addr_b32 v147, v10, v11 offset1:90
	v_add_f32_e32 v10, v130, v24
	v_add_f32_e32 v11, v24, v12
	v_add_f32_e32 v9, v39, v7
	v_sub_f32_e32 v7, v39, v7
	s_delay_alu instid0(VALU_DEP_3)
	v_dual_add_f32 v151, v10, v12 :: v_dual_fmac_f32 v130, -0.5, v11
	v_add_nc_u32_e32 v149, 0x400, v147
	ds_store_2addr_b32 v148, v9, v5 offset0:52 offset1:142
	ds_store_2addr_b32 v149, v8, v7 offset0:104 offset1:194
	global_wb scope:SCOPE_SE
	s_wait_dscnt 0x0
	s_barrier_signal -1
	s_barrier_wait -1
	global_inv scope:SCOPE_SE
	ds_load_b32 v43, v124
	ds_load_b32 v54, v123
	;; [unrolled: 1-line block ×6, first 2 shown]
	ds_load_2addr_b32 v[4:5], v109 offset0:56 offset1:164
	ds_load_2addr_b32 v[24:25], v118 offset0:104 offset1:212
	;; [unrolled: 1-line block ×12, first 2 shown]
	v_dual_add_f32 v122, v151, v152 :: v_dual_fmamk_f32 v55, v74, 0x3f5db3d7, v130
	v_add_f32_e32 v123, v57, v68
	v_dual_mul_f32 v57, 0.5, v135 :: v_dual_add_f32 v68, v127, v125
	global_wb scope:SCOPE_SE
	s_wait_dscnt 0x0
	v_add_f32_e32 v124, v55, v150
	v_dual_fmac_f32 v130, 0xbf5db3d7, v74 :: v_dual_fmac_f32 v131, -0.5, v123
	v_sub_f32_e32 v65, v151, v152
	v_fmac_f32_e32 v57, 0x3f5db3d7, v136
	v_sub_f32_e32 v55, v55, v150
	s_delay_alu instid0(VALU_DEP_4)
	v_dual_add_f32 v123, v130, v60 :: v_dual_fmamk_f32 v74, v49, 0x3f5db3d7, v131
	v_sub_f32_e32 v60, v130, v60
	v_add_f32_e32 v125, v52, v68
	s_barrier_signal -1
	s_barrier_wait -1
	v_add_f32_e32 v127, v74, v57
	global_inv scope:SCOPE_SE
	ds_store_2addr_b32 v129, v122, v124 offset1:90
	ds_store_2addr_b32 v134, v123, v65 offset0:52 offset1:142
	ds_store_2addr_b32 v71, v55, v60 offset0:104 offset1:194
	ds_store_2addr_b32 v75, v125, v127 offset1:90
	v_add_f32_e32 v55, v50, v62
	v_dual_fmac_f32 v131, 0xbf5db3d7, v49 :: v_dual_sub_f32 v44, v52, v68
	v_add_f32_e32 v49, v132, v50
	s_delay_alu instid0(VALU_DEP_3) | instskip(SKIP_1) | instid1(VALU_DEP_4)
	v_dual_sub_f32 v45, v45, v61 :: v_dual_fmac_f32 v132, -0.5, v55
	v_dual_mul_f32 v55, 0.5, v128 :: v_dual_sub_f32 v50, v74, v57
	v_add_f32_e32 v52, v131, v48
	s_delay_alu instid0(VALU_DEP_4) | instskip(NEXT) | instid1(VALU_DEP_4)
	v_dual_sub_f32 v48, v131, v48 :: v_dual_add_f32 v49, v49, v62
	v_dual_add_f32 v60, v138, v73 :: v_dual_fmamk_f32 v57, v45, 0x3f5db3d7, v132
	v_dual_fmac_f32 v132, 0xbf5db3d7, v45 :: v_dual_add_f32 v45, v41, v59
	v_fmac_f32_e32 v55, 0x3f5db3d7, v126
	v_add_f32_e32 v41, v133, v41
	s_delay_alu instid0(VALU_DEP_4) | instskip(NEXT) | instid1(VALU_DEP_4)
	v_add_f32_e32 v36, v49, v60
	v_dual_sub_f32 v49, v49, v60 :: v_dual_add_f32 v56, v132, v42
	v_fmac_f32_e32 v133, -0.5, v45
	v_add_f32_e32 v45, v57, v55
	v_dual_sub_f32 v55, v57, v55 :: v_dual_add_f32 v60, v140, v64
	v_dual_sub_f32 v42, v132, v42 :: v_dual_add_f32 v41, v41, v59
	v_mul_f32_e32 v57, 0.5, v141
	s_delay_alu instid0(VALU_DEP_2) | instskip(SKIP_1) | instid1(VALU_DEP_3)
	v_dual_fmamk_f32 v59, v40, 0x3f5db3d7, v133 :: v_dual_add_f32 v34, v41, v60
	v_dual_fmac_f32 v133, 0xbf5db3d7, v40 :: v_dual_add_f32 v40, v37, v47
	v_fmac_f32_e32 v57, 0x3f5db3d7, v66
	s_delay_alu instid0(VALU_DEP_2) | instskip(NEXT) | instid1(VALU_DEP_2)
	v_dual_add_f32 v37, v2, v37 :: v_dual_fmac_f32 v2, -0.5, v40
	v_add_f32_e32 v40, v59, v57
	v_sub_f32_e32 v53, v59, v57
	v_add_f32_e32 v57, v133, v38
	v_dual_sub_f32 v38, v133, v38 :: v_dual_mul_f32 v59, 0.5, v145
	v_add_f32_e32 v37, v37, v47
	v_add_f32_e32 v47, v144, v72
	s_delay_alu instid0(VALU_DEP_1) | instskip(SKIP_3) | instid1(VALU_DEP_3)
	v_dual_fmac_f32 v59, 0x3f5db3d7, v146 :: v_dual_add_f32 v32, v37, v47
	v_dual_sub_f32 v41, v41, v60 :: v_dual_fmamk_f32 v60, v35, 0x3f5db3d7, v2
	v_fmac_f32_e32 v2, 0xbf5db3d7, v35
	v_sub_f32_e32 v35, v37, v47
	v_add_f32_e32 v37, v60, v59
	v_sub_f32_e32 v47, v60, v59
	s_delay_alu instid0(VALU_DEP_4)
	v_add_f32_e32 v59, v2, v33
	v_sub_f32_e32 v2, v2, v33
	ds_store_2addr_b32 v137, v52, v44 offset0:52 offset1:142
	ds_store_2addr_b32 v70, v50, v48 offset0:104 offset1:194
	ds_store_2addr_b32 v63, v36, v45 offset1:90
	ds_store_2addr_b32 v139, v56, v49 offset0:52 offset1:142
	ds_store_2addr_b32 v69, v55, v42 offset0:104 offset1:194
	ds_store_2addr_b32 v142, v34, v40 offset1:90
	;; [unrolled: 3-line block ×3, first 2 shown]
	ds_store_2addr_b32 v148, v59, v35 offset0:52 offset1:142
	ds_store_2addr_b32 v149, v47, v2 offset0:104 offset1:194
	global_wb scope:SCOPE_SE
	s_wait_dscnt 0x0
	s_barrier_signal -1
	s_barrier_wait -1
	global_inv scope:SCOPE_SE
	s_and_saveexec_b32 s0, vcc_lo
	s_cbranch_execz .LBB0_15
; %bb.14:
	v_mul_i32_i24_e32 v2, 5, v104
	v_mul_u32_u24_e32 v32, 5, v98
	v_sub_nc_u32_e32 v42, 0, v114
	v_sub_nc_u32_e32 v75, 0, v116
	s_delay_alu instid0(VALU_DEP_4)
	v_lshlrev_b64_e32 v[36:37], 3, v[2:3]
	v_mul_i32_i24_e32 v2, 5, v103
	v_lshlrev_b32_e32 v38, 3, v32
	s_clause 0x1
	global_load_b128 v[32:35], v38, s[4:5] offset:4312
	global_load_b64 v[40:41], v38, s[4:5] offset:4328
	v_lshlrev_b64_e32 v[44:45], 3, v[2:3]
	v_mul_i32_i24_e32 v2, 5, v102
	v_add_co_u32 v36, vcc_lo, s4, v36
	s_wait_alu 0xfffd
	v_add_co_ci_u32_e32 v37, vcc_lo, s5, v37, vcc_lo
	s_delay_alu instid0(VALU_DEP_3)
	v_lshlrev_b64_e32 v[52:53], 3, v[2:3]
	v_add_co_u32 v44, vcc_lo, s4, v44
	s_clause 0x2
	global_load_b128 v[47:50], v[36:37], off offset:4296
	global_load_b128 v[59:62], v[36:37], off offset:4312
	global_load_b64 v[36:37], v[36:37], off offset:4328
	s_wait_alu 0xfffd
	v_add_co_ci_u32_e32 v45, vcc_lo, s5, v45, vcc_lo
	v_mul_i32_i24_e32 v2, 5, v101
	v_add_co_u32 v52, vcc_lo, s4, v52
	s_clause 0x2
	global_load_b128 v[63:66], v[44:45], off offset:4296
	global_load_b128 v[67:70], v[44:45], off offset:4312
	global_load_b64 v[44:45], v[44:45], off offset:4328
	s_wait_alu 0xfffd
	v_add_co_ci_u32_e32 v53, vcc_lo, s5, v53, vcc_lo
	v_lshlrev_b64_e32 v[2:3], 3, v[2:3]
	s_clause 0x2
	global_load_b128 v[71:74], v[52:53], off offset:4296
	global_load_b128 v[122:125], v[52:53], off offset:4312
	global_load_b64 v[52:53], v[52:53], off offset:4328
	v_add_nc_u32_e32 v42, v105, v42
	v_add_co_u32 v2, vcc_lo, s4, v2
	s_wait_alu 0xfffd
	v_add_co_ci_u32_e32 v3, vcc_lo, s5, v3, vcc_lo
	s_clause 0x3
	global_load_b128 v[101:104], v[2:3], off offset:4296
	global_load_b128 v[126:129], v[2:3], off offset:4312
	global_load_b64 v[55:56], v[2:3], off offset:4328
	global_load_b128 v[130:133], v38, s[4:5] offset:4296
	v_sub_nc_u32_e32 v38, 0, v113
	ds_load_2addr_b32 v[2:3], v118 offset0:104 offset1:212
	ds_load_2addr_b32 v[113:114], v119 offset0:32 offset1:140
	;; [unrolled: 1-line block ×10, first 2 shown]
	v_add_nc_u32_e32 v51, v51, v75
	v_add_co_u32 v0, vcc_lo, s10, v0
	v_add_nc_u32_e32 v38, v58, v38
	ds_load_2addr_b32 v[57:58], v115 offset0:120 offset1:228
	ds_load_2addr_b32 v[140:141], v109 offset0:56 offset1:164
	s_wait_alu 0xfffd
	v_add_co_ci_u32_e32 v1, vcc_lo, s11, v1, vcc_lo
	s_wait_loadcnt_dscnt 0xe0b
	v_mul_f32_e32 v109, v33, v3
	s_wait_loadcnt_dscnt 0xd0a
	v_mul_f32_e32 v112, v41, v114
	ds_load_b32 v38, v38
	ds_load_b32 v42, v42
	;; [unrolled: 1-line block ×6, first 2 shown]
	v_mul_f32_e32 v107, v6, v35
	s_wait_dscnt 0xf
	v_dual_mul_f32 v108, v118, v35 :: v_dual_mul_f32 v33, v25, v33
	v_mul_f32_e32 v35, v27, v41
	v_fmac_f32_e32 v109, v25, v32
	v_fma_f32 v41, v34, v118, -v107
	s_delay_alu instid0(VALU_DEP_4)
	v_fmac_f32_e32 v108, v6, v34
	v_fmac_f32_e32 v112, v27, v40
	v_fma_f32 v6, v32, v3, -v33
	s_wait_loadcnt 0xc
	v_mul_f32_e32 v3, v24, v50
	v_fma_f32 v27, v40, v114, -v35
	s_wait_loadcnt_dscnt 0xb0e
	v_dual_mul_f32 v25, v26, v62 :: v_dual_mul_f32 v34, v48, v135
	s_wait_dscnt 0xd
	v_dual_mul_f32 v32, v2, v50 :: v_dual_mul_f32 v35, v60, v137
	v_dual_mul_f32 v33, v113, v62 :: v_dual_mul_f32 v48, v19, v48
	s_wait_loadcnt_dscnt 0xa0c
	v_dual_mul_f32 v40, v37, v121 :: v_dual_add_f32 v107, v6, v27
	v_dual_mul_f32 v50, v21, v60 :: v_dual_mul_f32 v37, v23, v37
	s_delay_alu instid0(VALU_DEP_3)
	v_dual_add_f32 v60, v109, v112 :: v_dual_fmac_f32 v33, v26, v61
	v_sub_f32_e32 v62, v6, v27
	v_sub_f32_e32 v114, v109, v112
	v_fma_f32 v2, v49, v2, -v3
	v_fma_f32 v3, v61, v113, -v25
	v_dual_fmac_f32 v32, v24, v49 :: v_dual_fmac_f32 v35, v21, v59
	v_fmac_f32_e32 v34, v19, v47
	v_fmac_f32_e32 v40, v23, v36
	v_fma_f32 v19, v59, v137, -v50
	v_fma_f32 v21, v36, v121, -v37
	;; [unrolled: 1-line block ×3, first 2 shown]
	s_wait_loadcnt 0x8
	v_dual_mul_f32 v24, v15, v66 :: v_dual_mul_f32 v49, v20, v68
	v_mul_f32_e32 v25, v17, v70
	s_wait_dscnt 0xb
	v_dual_mul_f32 v26, v111, v66 :: v_dual_add_f32 v59, v2, v3
	s_wait_dscnt 0xa
	v_dual_mul_f32 v36, v139, v70 :: v_dual_sub_f32 v61, v32, v33
	v_mul_f32_e32 v37, v64, v134
	v_mul_f32_e32 v47, v68, v136
	s_wait_loadcnt_dscnt 0x704
	v_dual_mul_f32 v48, v45, v120 :: v_dual_add_f32 v113, v42, v2
	v_mul_f32_e32 v45, v22, v45
	v_mul_f32_e32 v50, v18, v64
	v_dual_add_f32 v64, v35, v40 :: v_dual_add_f32 v115, v32, v33
	v_sub_f32_e32 v66, v19, v21
	v_dual_add_f32 v68, v19, v21 :: v_dual_fmac_f32 v37, v18, v63
	v_dual_sub_f32 v70, v35, v40 :: v_dual_fmac_f32 v47, v20, v67
	v_add_f32_e32 v19, v23, v19
	v_sub_f32_e32 v2, v2, v3
	v_add_f32_e32 v32, v54, v32
	v_add_f32_e32 v35, v34, v35
	v_fma_f32 v24, v65, v111, -v24
	v_fma_f32 v25, v69, v139, -v25
	v_fmac_f32_e32 v26, v15, v65
	s_wait_loadcnt 0x5
	v_dual_fmac_f32 v36, v17, v69 :: v_dual_mul_f32 v65, v11, v123
	v_fmac_f32_e32 v48, v22, v44
	v_fma_f32 v15, v67, v136, -v49
	v_fma_f32 v17, v44, v120, -v45
	v_fma_f32 v18, v63, v134, -v50
	v_dual_mul_f32 v49, v72, v30 :: v_dual_mul_f32 v50, v123, v117
	s_wait_loadcnt 0x4
	v_mul_f32_e32 v63, v53, v58
	v_dual_mul_f32 v53, v13, v53 :: v_dual_mul_f32 v20, v14, v74
	v_mul_f32_e32 v22, v16, v125
	v_dual_mul_f32 v44, v110, v74 :: v_dual_add_f32 v19, v19, v21
	v_mul_f32_e32 v45, v138, v125
	v_mul_f32_e32 v67, v9, v72
	v_fma_f32 v42, -0.5, v59, v42
	v_fma_f32 v34, -0.5, v64, v34
	;; [unrolled: 1-line block ×3, first 2 shown]
	v_add_f32_e32 v59, v113, v3
	v_fma_f32 v21, -0.5, v115, v54
	v_add_f32_e32 v54, v47, v48
	v_dual_add_f32 v32, v32, v33 :: v_dual_sub_f32 v69, v47, v48
	v_add_f32_e32 v33, v35, v40
	v_dual_add_f32 v35, v24, v25 :: v_dual_sub_f32 v40, v26, v36
	v_dual_sub_f32 v64, v15, v17 :: v_dual_add_f32 v47, v37, v47
	v_dual_add_f32 v68, v15, v17 :: v_dual_fmac_f32 v45, v16, v124
	v_dual_add_f32 v72, v38, v24 :: v_dual_fmac_f32 v49, v9, v71
	v_add_f32_e32 v15, v18, v15
	v_add_f32_e32 v74, v26, v36
	;; [unrolled: 1-line block ×3, first 2 shown]
	v_fmac_f32_e32 v50, v11, v122
	v_fma_f32 v9, v122, v117, -v65
	s_wait_loadcnt 0x3
	v_mul_f32_e32 v65, v102, v29
	v_fma_f32 v11, v52, v58, -v53
	v_dual_sub_f32 v24, v24, v25 :: v_dual_fmac_f32 v63, v13, v52
	v_fma_f32 v20, v73, v110, -v20
	v_fma_f32 v22, v124, v138, -v22
	v_fmac_f32_e32 v44, v14, v73
	v_fma_f32 v30, v71, v30, -v67
	s_wait_loadcnt 0x2
	v_mul_f32_e32 v67, v127, v116
	v_dual_mul_f32 v16, v5, v104 :: v_dual_mul_f32 v73, v10, v127
	v_dual_mul_f32 v52, v7, v129 :: v_dual_fmamk_f32 v115, v61, 0xbf5db3d7, v42
	v_dual_mul_f32 v53, v141, v104 :: v_dual_mul_f32 v58, v119, v129
	v_fmamk_f32 v117, v66, 0x3f5db3d7, v34
	s_wait_loadcnt 0x1
	v_mul_f32_e32 v71, v56, v57
	s_wait_loadcnt_dscnt 0x0
	v_dual_mul_f32 v56, v12, v56 :: v_dual_mul_f32 v111, v131, v51
	v_dual_mul_f32 v102, v8, v102 :: v_dual_mul_f32 v113, v43, v131
	v_mul_f32_e32 v104, v4, v133
	v_dual_mul_f32 v110, v140, v133 :: v_dual_sub_f32 v3, v59, v19
	v_dual_fmamk_f32 v118, v70, 0xbf5db3d7, v23 :: v_dual_add_f32 v13, v32, v33
	v_dual_fmac_f32 v42, 0x3f5db3d7, v61 :: v_dual_fmamk_f32 v61, v2, 0x3f5db3d7, v21
	v_fmac_f32_e32 v23, 0x3f5db3d7, v70
	v_dual_fmac_f32 v21, 0xbf5db3d7, v2 :: v_dual_sub_f32 v2, v32, v33
	v_add_f32_e32 v14, v59, v19
	v_fma_f32 v35, -0.5, v35, v38
	v_fma_f32 v19, -0.5, v54, v37
	;; [unrolled: 1-line block ×3, first 2 shown]
	v_add_f32_e32 v18, v72, v25
	v_fma_f32 v37, -0.5, v74, v46
	v_add_f32_e32 v25, v26, v36
	v_dual_add_f32 v26, v47, v48 :: v_dual_add_f32 v33, v20, v22
	v_dual_add_f32 v47, v9, v11 :: v_dual_fmac_f32 v34, 0xbf5db3d7, v66
	v_add_f32_e32 v17, v15, v17
	v_dual_sub_f32 v36, v44, v45 :: v_dual_fmac_f32 v53, v5, v103
	v_dual_add_f32 v38, v50, v63 :: v_dual_add_f32 v59, v44, v45
	v_dual_sub_f32 v46, v9, v11 :: v_dual_add_f32 v9, v30, v9
	v_dual_sub_f32 v48, v50, v63 :: v_dual_fmac_f32 v65, v8, v101
	v_dual_add_f32 v54, v75, v20 :: v_dual_fmac_f32 v67, v10, v126
	v_sub_f32_e32 v20, v20, v22
	v_dual_add_f32 v44, v39, v44 :: v_dual_fmac_f32 v71, v12, v55
	v_add_f32_e32 v50, v49, v50
	v_fma_f32 v66, v103, v141, -v16
	v_fma_f32 v52, v128, v119, -v52
	v_fmac_f32_e32 v58, v7, v128
	v_fma_f32 v5, v126, v116, -v73
	v_fma_f32 v7, v55, v57, -v56
	;; [unrolled: 1-line block ×4, first 2 shown]
	v_dual_fmac_f32 v110, v4, v132 :: v_dual_fmac_f32 v111, v43, v130
	v_fma_f32 v4, v130, v51, -v113
	v_dual_mul_f32 v12, -0.5, v118 :: v_dual_fmamk_f32 v55, v40, 0xbf5db3d7, v35
	v_mul_f32_e32 v43, 0.5, v23
	v_mul_f32_e32 v51, 0xbf5db3d7, v118
	v_dual_fmamk_f32 v29, v69, 0xbf5db3d7, v32 :: v_dual_sub_f32 v16, v18, v17
	v_dual_fmac_f32 v35, 0x3f5db3d7, v40 :: v_dual_fmac_f32 v32, 0x3f5db3d7, v69
	v_fmamk_f32 v40, v24, 0x3f5db3d7, v37
	v_dual_fmac_f32 v37, 0xbf5db3d7, v24 :: v_dual_add_f32 v22, v54, v22
	v_fma_f32 v24, -0.5, v47, v30
	v_mul_f32_e32 v23, 0xbf5db3d7, v23
	v_dual_fmamk_f32 v56, v64, 0x3f5db3d7, v19 :: v_dual_sub_f32 v15, v25, v26
	v_dual_fmac_f32 v19, 0xbf5db3d7, v64 :: v_dual_add_f32 v18, v18, v17
	v_fma_f32 v57, -0.5, v33, v75
	v_fma_f32 v38, -0.5, v38, v49
	v_dual_add_f32 v9, v9, v11 :: v_dual_sub_f32 v64, v66, v52
	v_fma_f32 v47, -0.5, v59, v39
	v_dual_add_f32 v11, v44, v45 :: v_dual_sub_f32 v44, v53, v58
	v_add_f32_e32 v33, v50, v63
	v_dual_add_f32 v39, v66, v52 :: v_dual_add_f32 v50, v5, v7
	v_dual_add_f32 v45, v67, v71 :: v_dual_sub_f32 v68, v110, v108
	v_dual_sub_f32 v49, v5, v7 :: v_dual_add_f32 v70, v106, v10
	v_dual_sub_f32 v54, v67, v71 :: v_dual_add_f32 v59, v105, v66
	v_dual_add_f32 v5, v8, v5 :: v_dual_add_f32 v66, v65, v67
	v_add_f32_e32 v63, v53, v58
	v_dual_add_f32 v53, v31, v53 :: v_dual_mul_f32 v74, 0.5, v32
	v_dual_add_f32 v67, v10, v41 :: v_dual_fmamk_f32 v102, v36, 0xbf5db3d7, v57
	v_fma_f32 v60, -0.5, v60, v111
	v_fma_f32 v69, -0.5, v107, v4
	v_add_f32_e32 v4, v4, v6
	v_dual_sub_f32 v72, v10, v41 :: v_dual_fmac_f32 v43, 0x3f5db3d7, v34
	v_dual_fmac_f32 v12, 0x3f5db3d7, v117 :: v_dual_fmac_f32 v23, 0.5, v34
	v_fmac_f32_e32 v51, -0.5, v117
	v_dual_mul_f32 v101, 0xbf5db3d7, v32 :: v_dual_fmamk_f32 v32, v48, 0xbf5db3d7, v24
	v_dual_add_f32 v17, v25, v26 :: v_dual_sub_f32 v26, v22, v9
	v_dual_add_f32 v6, v110, v108 :: v_dual_mul_f32 v73, -0.5, v29
	v_mul_f32_e32 v75, 0xbf5db3d7, v29
	v_fmamk_f32 v103, v46, 0x3f5db3d7, v38
	v_dual_fmac_f32 v57, 0x3f5db3d7, v36 :: v_dual_add_f32 v30, v22, v9
	v_fmac_f32_e32 v38, 0xbf5db3d7, v46
	v_dual_fmac_f32 v24, 0x3f5db3d7, v48 :: v_dual_sub_f32 v25, v11, v33
	v_fmamk_f32 v46, v20, 0x3f5db3d7, v47
	v_dual_fmac_f32 v47, 0xbf5db3d7, v20 :: v_dual_add_f32 v22, v5, v7
	v_dual_add_f32 v29, v11, v33 :: v_dual_add_f32 v36, v66, v71
	v_fma_f32 v104, -0.5, v39, v105
	v_fma_f32 v39, -0.5, v50, v8
	v_add_f32_e32 v20, v59, v52
	v_fma_f32 v59, -0.5, v63, v31
	v_dual_add_f32 v33, v53, v58 :: v_dual_fmamk_f32 v58, v62, 0x3f5db3d7, v60
	v_fma_f32 v63, -0.5, v67, v106
	v_dual_fmamk_f32 v48, v114, 0xbf5db3d7, v69 :: v_dual_sub_f32 v5, v115, v12
	v_dual_fmac_f32 v60, 0xbf5db3d7, v62 :: v_dual_add_f32 v67, v70, v41
	v_dual_fmac_f32 v69, 0x3f5db3d7, v114 :: v_dual_add_f32 v70, v4, v27
	v_sub_f32_e32 v7, v42, v43
	v_dual_sub_f32 v4, v61, v51 :: v_dual_add_f32 v9, v115, v12
	v_dual_fmac_f32 v101, 0.5, v19 :: v_dual_mul_f32 v12, -0.5, v32
	v_fma_f32 v45, -0.5, v45, v65
	v_fma_f32 v71, -0.5, v6, v28
	v_dual_sub_f32 v6, v21, v23 :: v_dual_fmac_f32 v73, 0x3f5db3d7, v56
	s_delay_alu instid0(VALU_DEP_3)
	v_dual_add_f32 v11, v42, v43 :: v_dual_fmamk_f32 v50, v49, 0x3f5db3d7, v45
	v_dual_add_f32 v8, v61, v51 :: v_dual_fmac_f32 v75, -0.5, v56
	v_dual_add_f32 v10, v21, v23 :: v_dual_mul_f32 v27, 0.5, v24
	v_fmac_f32_e32 v74, 0x3f5db3d7, v19
	v_dual_mul_f32 v41, 0xbf5db3d7, v32 :: v_dual_fmamk_f32 v42, v54, 0xbf5db3d7, v39
	v_dual_mul_f32 v43, 0xbf5db3d7, v24 :: v_dual_sub_f32 v32, v20, v22
	v_dual_fmamk_f32 v51, v44, 0xbf5db3d7, v104 :: v_dual_mul_f32 v62, -0.5, v48
	v_dual_fmac_f32 v104, 0x3f5db3d7, v44 :: v_dual_fmac_f32 v39, 0x3f5db3d7, v54
	v_dual_sub_f32 v21, v37, v101 :: v_dual_fmac_f32 v12, 0x3f5db3d7, v103
	v_dual_fmac_f32 v45, 0xbf5db3d7, v49 :: v_dual_add_f32 v34, v20, v22
	v_fmamk_f32 v53, v64, 0x3f5db3d7, v59
	v_dual_fmac_f32 v59, 0xbf5db3d7, v64 :: v_dual_sub_f32 v20, v55, v73
	v_sub_f32_e32 v31, v33, v36
	v_dual_add_f32 v33, v33, v36 :: v_dual_sub_f32 v22, v35, v74
	v_dual_fmamk_f32 v61, v68, 0xbf5db3d7, v63 :: v_dual_add_f32 v24, v55, v73
	v_dual_fmac_f32 v63, 0x3f5db3d7, v68 :: v_dual_add_f32 v36, v35, v74
	v_dual_mul_f32 v64, 0.5, v69 :: v_dual_mul_f32 v105, 0xbf5db3d7, v48
	v_dual_mul_f32 v52, -0.5, v42 :: v_dual_mul_f32 v69, 0xbf5db3d7, v69
	v_dual_mul_f32 v54, 0.5, v39 :: v_dual_add_f32 v35, v37, v101
	v_mul_f32_e32 v56, 0xbf5db3d7, v39
	v_fmac_f32_e32 v27, 0x3f5db3d7, v38
	v_fmac_f32_e32 v41, -0.5, v103
	v_dual_fmac_f32 v43, 0.5, v38 :: v_dual_sub_f32 v38, v102, v12
	s_delay_alu instid0(VALU_DEP_3)
	v_dual_mul_f32 v55, 0xbf5db3d7, v42 :: v_dual_add_f32 v44, v57, v27
	v_dual_sub_f32 v19, v40, v75 :: v_dual_fmac_f32 v62, 0x3f5db3d7, v58
	v_dual_add_f32 v23, v40, v75 :: v_dual_fmac_f32 v64, 0x3f5db3d7, v60
	v_sub_f32_e32 v40, v57, v27
	v_dual_sub_f32 v39, v47, v43 :: v_dual_fmac_f32 v54, 0x3f5db3d7, v45
	v_add_f32_e32 v42, v102, v12
	v_dual_sub_f32 v37, v46, v41 :: v_dual_fmac_f32 v52, 0x3f5db3d7, v50
	v_dual_add_f32 v43, v47, v43 :: v_dual_fmac_f32 v56, 0.5, v45
	v_fmac_f32_e32 v55, -0.5, v50
	v_add_f32_e32 v12, v28, v110
	s_delay_alu instid0(VALU_DEP_4) | instskip(SKIP_1) | instid1(VALU_DEP_4)
	v_sub_f32_e32 v48, v51, v52
	v_sub_f32_e32 v50, v104, v54
	v_dual_add_f32 v52, v51, v52 :: v_dual_add_f32 v51, v53, v55
	v_sub_f32_e32 v47, v53, v55
	v_add_f32_e32 v53, v59, v56
	v_mad_co_u64_u32 v[27:28], null, s8, v98, 0
	v_dual_fmamk_f32 v68, v72, 0x3f5db3d7, v71 :: v_dual_add_f32 v41, v46, v41
	v_dual_sub_f32 v46, v61, v62 :: v_dual_sub_f32 v49, v59, v56
	v_add_f32_e32 v54, v104, v54
	v_fmac_f32_e32 v105, -0.5, v58
	v_dual_fmac_f32 v71, 0xbf5db3d7, v72 :: v_dual_sub_f32 v58, v67, v70
	v_add_f32_e32 v45, v111, v109
	v_fmac_f32_e32 v69, 0.5, v60
	v_add_f32_e32 v72, v12, v108
	v_mov_b32_e32 v12, v28
	v_sub_f32_e32 v56, v63, v64
	v_add_f32_e32 v60, v61, v62
	v_dual_add_f32 v62, v63, v64 :: v_dual_add_f32 v59, v68, v105
	v_mad_co_u64_u32 v[63:64], null, s8, v95, 0
	v_add_f32_e32 v73, v45, v112
	v_sub_f32_e32 v45, v68, v105
	v_mad_co_u64_u32 v[65:66], null, s9, v98, v[12:13]
	v_sub_f32_e32 v55, v71, v69
	v_add_f32_e32 v61, v71, v69
	v_mad_co_u64_u32 v[68:69], null, s8, v99, 0
	v_dual_mov_b32 v12, v64 :: v_dual_add_f32 v67, v67, v70
	v_add_f32_e32 v66, v72, v73
	v_mad_co_u64_u32 v[70:71], null, s8, v100, 0
	v_dual_sub_f32 v57, v72, v73 :: v_dual_mov_b32 v28, v65
	s_delay_alu instid0(VALU_DEP_4) | instskip(SKIP_4) | instid1(VALU_DEP_4)
	v_mad_co_u64_u32 v[64:65], null, s9, v95, v[12:13]
	v_mov_b32_e32 v12, v69
	v_mad_co_u64_u32 v[74:75], null, s8, v97, 0
	v_mov_b32_e32 v65, v71
	v_lshlrev_b64_e32 v[27:28], 3, v[27:28]
	v_mad_co_u64_u32 v[71:72], null, s9, v99, v[12:13]
	v_lshlrev_b64_e32 v[63:64], 3, v[63:64]
	s_delay_alu instid0(VALU_DEP_4) | instskip(NEXT) | instid1(VALU_DEP_4)
	v_mad_co_u64_u32 v[72:73], null, s9, v100, v[65:66]
	v_add_co_u32 v27, vcc_lo, v0, v27
	s_wait_alu 0xfffd
	v_add_co_ci_u32_e32 v28, vcc_lo, v1, v28, vcc_lo
	v_mov_b32_e32 v69, v71
	v_add_co_u32 v63, vcc_lo, v0, v63
	v_mov_b32_e32 v71, v72
	v_mad_co_u64_u32 v[72:73], null, s8, v96, 0
	s_wait_alu 0xfffd
	v_add_co_ci_u32_e32 v64, vcc_lo, v1, v64, vcc_lo
	s_delay_alu instid0(VALU_DEP_3) | instskip(NEXT) | instid1(VALU_DEP_3)
	v_lshlrev_b64_e32 v[70:71], 3, v[70:71]
	v_mov_b32_e32 v12, v73
	s_delay_alu instid0(VALU_DEP_1) | instskip(SKIP_1) | instid1(VALU_DEP_1)
	v_mad_co_u64_u32 v[95:96], null, s9, v96, v[12:13]
	v_mov_b32_e32 v12, v75
	v_mad_co_u64_u32 v[96:97], null, s9, v97, v[12:13]
	v_mad_co_u64_u32 v[97:98], null, s8, v92, 0
	s_delay_alu instid0(VALU_DEP_1) | instskip(SKIP_1) | instid1(VALU_DEP_1)
	v_mov_b32_e32 v12, v98
	v_lshlrev_b64_e32 v[68:69], 3, v[68:69]
	v_add_co_u32 v68, vcc_lo, v0, v68
	s_wait_alu 0xfffd
	s_delay_alu instid0(VALU_DEP_2)
	v_add_co_ci_u32_e32 v69, vcc_lo, v1, v69, vcc_lo
	v_add_co_u32 v70, vcc_lo, v0, v70
	s_wait_alu 0xfffd
	v_add_co_ci_u32_e32 v71, vcc_lo, v1, v71, vcc_lo
	s_clause 0x3
	global_store_b64 v[27:28], v[66:67], off
	global_store_b64 v[63:64], v[61:62], off
	;; [unrolled: 1-line block ×4, first 2 shown]
	v_mad_co_u64_u32 v[61:62], null, s9, v92, v[12:13]
	v_mov_b32_e32 v73, v95
	v_mad_co_u64_u32 v[57:58], null, s8, v89, 0
	v_mad_co_u64_u32 v[62:63], null, s8, v93, 0
	s_delay_alu instid0(VALU_DEP_4) | instskip(NEXT) | instid1(VALU_DEP_4)
	v_dual_mov_b32 v75, v96 :: v_dual_mov_b32 v98, v61
	v_lshlrev_b64_e32 v[27:28], 3, v[72:73]
	v_mad_co_u64_u32 v[64:65], null, s8, v94, 0
	s_delay_alu instid0(VALU_DEP_3) | instskip(SKIP_1) | instid1(VALU_DEP_4)
	v_lshlrev_b64_e32 v[59:60], 3, v[74:75]
	v_mov_b32_e32 v12, v58
	v_add_co_u32 v27, vcc_lo, v0, v27
	s_wait_alu 0xfffd
	v_add_co_ci_u32_e32 v28, vcc_lo, v1, v28, vcc_lo
	s_delay_alu instid0(VALU_DEP_4)
	v_add_co_u32 v58, vcc_lo, v0, v59
	s_wait_alu 0xfffd
	v_add_co_ci_u32_e32 v59, vcc_lo, v1, v60, vcc_lo
	v_mad_co_u64_u32 v[60:61], null, s9, v89, v[12:13]
	v_mov_b32_e32 v12, v63
	s_clause 0x1
	global_store_b64 v[27:28], v[55:56], off
	global_store_b64 v[58:59], v[45:46], off
	v_lshlrev_b64_e32 v[27:28], 3, v[97:98]
	v_mad_co_u64_u32 v[45:46], null, s9, v93, v[12:13]
	v_mov_b32_e32 v58, v60
	s_delay_alu instid0(VALU_DEP_3) | instskip(SKIP_1) | instid1(VALU_DEP_4)
	v_add_co_u32 v27, vcc_lo, v0, v27
	s_wait_alu 0xfffd
	v_add_co_ci_u32_e32 v28, vcc_lo, v1, v28, vcc_lo
	s_delay_alu instid0(VALU_DEP_4)
	v_dual_mov_b32 v12, v65 :: v_dual_mov_b32 v63, v45
	v_lshlrev_b64_e32 v[55:56], 3, v[57:58]
	global_store_b64 v[27:28], v[33:34], off
	v_mad_co_u64_u32 v[57:58], null, s8, v90, 0
	v_lshlrev_b64_e32 v[27:28], 3, v[62:63]
	v_mad_co_u64_u32 v[45:46], null, s9, v94, v[12:13]
	v_add_co_u32 v55, vcc_lo, v0, v55
	s_wait_alu 0xfffd
	v_add_co_ci_u32_e32 v56, vcc_lo, v1, v56, vcc_lo
	s_delay_alu instid0(VALU_DEP_4) | instskip(NEXT) | instid1(VALU_DEP_4)
	v_add_co_u32 v27, vcc_lo, v0, v27
	v_mov_b32_e32 v65, v45
	s_wait_alu 0xfffd
	v_add_co_ci_u32_e32 v28, vcc_lo, v1, v28, vcc_lo
	v_mad_co_u64_u32 v[33:34], null, s8, v91, 0
	s_clause 0x1
	global_store_b64 v[55:56], v[53:54], off
	global_store_b64 v[27:28], v[51:52], off
	v_mad_co_u64_u32 v[51:52], null, s8, v88, 0
	v_mov_b32_e32 v12, v58
	v_lshlrev_b64_e32 v[45:46], 3, v[64:65]
	s_delay_alu instid0(VALU_DEP_2) | instskip(SKIP_2) | instid1(VALU_DEP_4)
	v_mad_co_u64_u32 v[53:54], null, s9, v90, v[12:13]
	v_mad_co_u64_u32 v[54:55], null, s9, v91, v[34:35]
	;; [unrolled: 1-line block ×3, first 2 shown]
	v_add_co_u32 v45, vcc_lo, v0, v45
	s_wait_alu 0xfffd
	v_add_co_ci_u32_e32 v46, vcc_lo, v1, v46, vcc_lo
	s_delay_alu instid0(VALU_DEP_4)
	v_mov_b32_e32 v34, v54
	v_mov_b32_e32 v58, v53
	;; [unrolled: 1-line block ×3, first 2 shown]
	global_store_b64 v[45:46], v[31:32], off
	v_mad_co_u64_u32 v[45:46], null, s8, v84, 0
	v_lshlrev_b64_e32 v[31:32], 3, v[33:34]
	v_mad_co_u64_u32 v[33:34], null, s9, v86, v[12:13]
	v_lshlrev_b64_e32 v[27:28], 3, v[57:58]
	s_delay_alu instid0(VALU_DEP_4) | instskip(NEXT) | instid1(VALU_DEP_3)
	v_mov_b32_e32 v12, v46
	v_dual_mov_b32 v56, v33 :: v_dual_mov_b32 v33, v52
	s_delay_alu instid0(VALU_DEP_3) | instskip(SKIP_1) | instid1(VALU_DEP_4)
	v_add_co_u32 v27, vcc_lo, v0, v27
	s_wait_alu 0xfffd
	v_add_co_ci_u32_e32 v28, vcc_lo, v1, v28, vcc_lo
	s_delay_alu instid0(VALU_DEP_3)
	v_lshlrev_b64_e32 v[52:53], 3, v[55:56]
	v_mad_co_u64_u32 v[54:55], null, s9, v84, v[12:13]
	v_mad_co_u64_u32 v[55:56], null, s8, v87, 0
	v_add_co_u32 v31, vcc_lo, v0, v31
	s_wait_alu 0xfffd
	v_add_co_ci_u32_e32 v32, vcc_lo, v1, v32, vcc_lo
	v_add_co_u32 v52, vcc_lo, v0, v52
	s_wait_alu 0xfffd
	v_add_co_ci_u32_e32 v53, vcc_lo, v1, v53, vcc_lo
	v_mov_b32_e32 v12, v56
	v_mad_co_u64_u32 v[33:34], null, s9, v88, v[33:34]
	s_clause 0x2
	global_store_b64 v[27:28], v[49:50], off
	global_store_b64 v[31:32], v[47:48], off
	;; [unrolled: 1-line block ×3, first 2 shown]
	v_mad_co_u64_u32 v[29:30], null, s9, v87, v[12:13]
	v_mov_b32_e32 v46, v54
	v_mad_co_u64_u32 v[30:31], null, s8, v83, 0
	v_mov_b32_e32 v52, v33
	v_mad_co_u64_u32 v[47:48], null, s8, v80, 0
	s_delay_alu instid0(VALU_DEP_4)
	v_lshlrev_b64_e32 v[27:28], 3, v[45:46]
	v_mad_co_u64_u32 v[45:46], null, s8, v85, 0
	v_mov_b32_e32 v56, v29
	v_mov_b32_e32 v12, v31
	v_lshlrev_b64_e32 v[32:33], 3, v[51:52]
	v_add_co_u32 v27, vcc_lo, v0, v27
	s_delay_alu instid0(VALU_DEP_4)
	v_lshlrev_b64_e32 v[49:50], 3, v[55:56]
	v_mov_b32_e32 v29, v46
	v_mad_co_u64_u32 v[51:52], null, s9, v83, v[12:13]
	s_wait_alu 0xfffd
	v_add_co_ci_u32_e32 v28, vcc_lo, v1, v28, vcc_lo
	v_add_co_u32 v32, vcc_lo, v0, v32
	v_mov_b32_e32 v12, v48
	s_wait_alu 0xfffd
	v_add_co_ci_u32_e32 v33, vcc_lo, v1, v33, vcc_lo
	v_mad_co_u64_u32 v[52:53], null, s9, v85, v[29:30]
	v_add_co_u32 v48, vcc_lo, v0, v49
	v_mad_co_u64_u32 v[53:54], null, s8, v79, 0
	s_wait_alu 0xfffd
	v_add_co_ci_u32_e32 v49, vcc_lo, v1, v50, vcc_lo
	v_mov_b32_e32 v31, v51
	v_mad_co_u64_u32 v[50:51], null, s9, v80, v[12:13]
	v_mov_b32_e32 v46, v52
	v_mov_b32_e32 v12, v54
	s_clause 0x1
	global_store_b64 v[27:28], v[43:44], off
	global_store_b64 v[32:33], v[41:42], off
	v_lshlrev_b64_e32 v[27:28], 3, v[30:31]
	global_store_b64 v[48:49], v[25:26], off
	v_lshlrev_b64_e32 v[25:26], 3, v[45:46]
	v_mov_b32_e32 v48, v50
	v_mad_co_u64_u32 v[31:32], null, s9, v79, v[12:13]
	v_mad_co_u64_u32 v[32:33], null, s8, v82, 0
	v_add_co_u32 v27, vcc_lo, v0, v27
	s_delay_alu instid0(VALU_DEP_4)
	v_lshlrev_b64_e32 v[29:30], 3, v[47:48]
	s_wait_alu 0xfffd
	v_add_co_ci_u32_e32 v28, vcc_lo, v1, v28, vcc_lo
	v_add_co_u32 v25, vcc_lo, v0, v25
	s_wait_alu 0xfffd
	v_add_co_ci_u32_e32 v26, vcc_lo, v1, v26, vcc_lo
	v_add_co_u32 v29, vcc_lo, v0, v29
	v_mov_b32_e32 v12, v33
	s_wait_alu 0xfffd
	v_add_co_ci_u32_e32 v30, vcc_lo, v1, v30, vcc_lo
	v_mad_co_u64_u32 v[41:42], null, s8, v81, 0
	s_clause 0x2
	global_store_b64 v[27:28], v[39:40], off
	global_store_b64 v[25:26], v[37:38], off
	;; [unrolled: 1-line block ×3, first 2 shown]
	v_mad_co_u64_u32 v[25:26], null, s9, v82, v[12:13]
	v_mov_b32_e32 v54, v31
	v_mad_co_u64_u32 v[26:27], null, s8, v77, 0
	v_mov_b32_e32 v12, v42
	s_delay_alu instid0(VALU_DEP_3) | instskip(SKIP_2) | instid1(VALU_DEP_4)
	v_lshlrev_b64_e32 v[17:18], 3, v[53:54]
	v_mov_b32_e32 v33, v25
	v_mul_hi_u32 v25, 0xf2b9d649, v76
	v_mad_co_u64_u32 v[28:29], null, s9, v81, v[12:13]
	v_mad_co_u64_u32 v[29:30], null, s8, v78, 0
	v_mov_b32_e32 v12, v27
	v_add_co_u32 v17, vcc_lo, v0, v17
	v_lshrrev_b32_e32 v25, 9, v25
	s_wait_alu 0xfffd
	v_add_co_ci_u32_e32 v18, vcc_lo, v1, v18, vcc_lo
	v_mov_b32_e32 v42, v28
	v_mad_co_u64_u32 v[27:28], null, s9, v77, v[12:13]
	v_mov_b32_e32 v12, v30
	v_mad_u32_u24 v28, 0xa8c, v25, v76
	global_store_b64 v[17:18], v[35:36], off
	v_lshlrev_b64_e32 v[17:18], 3, v[32:33]
	v_lshlrev_b64_e32 v[30:31], 3, v[41:42]
	v_mad_co_u64_u32 v[32:33], null, s9, v78, v[12:13]
	v_mad_co_u64_u32 v[33:34], null, s8, v28, 0
	s_delay_alu instid0(VALU_DEP_4) | instskip(SKIP_3) | instid1(VALU_DEP_4)
	v_add_co_u32 v17, vcc_lo, v0, v17
	s_wait_alu 0xfffd
	v_add_co_ci_u32_e32 v18, vcc_lo, v1, v18, vcc_lo
	v_add_co_u32 v35, vcc_lo, v0, v30
	v_mov_b32_e32 v12, v34
	s_wait_alu 0xfffd
	v_add_co_ci_u32_e32 v36, vcc_lo, v1, v31, vcc_lo
	v_dual_mov_b32 v30, v32 :: v_dual_add_nc_u32 v31, 0xa8c, v28
	global_store_b64 v[17:18], v[23:24], off
	v_mad_co_u64_u32 v[23:24], null, s9, v28, v[12:13]
	v_lshlrev_b64_e32 v[17:18], 3, v[26:27]
	v_add_nc_u32_e32 v25, 0x21c, v28
	global_store_b64 v[35:36], v[15:16], off
	v_lshlrev_b64_e32 v[15:16], 3, v[29:30]
	v_add_nc_u32_e32 v26, 0x438, v28
	v_add_nc_u32_e32 v29, 0x654, v28
	v_add_co_u32 v17, vcc_lo, v0, v17
	v_mov_b32_e32 v34, v23
	v_mad_co_u64_u32 v[23:24], null, s8, v25, 0
	s_wait_alu 0xfffd
	v_add_co_ci_u32_e32 v18, vcc_lo, v1, v18, vcc_lo
	v_add_co_u32 v15, vcc_lo, v0, v15
	s_wait_alu 0xfffd
	v_add_co_ci_u32_e32 v16, vcc_lo, v1, v16, vcc_lo
	s_delay_alu instid0(VALU_DEP_4)
	v_mov_b32_e32 v12, v24
	global_store_b64 v[17:18], v[21:22], off
	v_mad_co_u64_u32 v[17:18], null, s8, v26, 0
	global_store_b64 v[15:16], v[19:20], off
	v_mad_co_u64_u32 v[19:20], null, s8, v29, 0
	v_lshlrev_b64_e32 v[15:16], 3, v[33:34]
	v_mad_co_u64_u32 v[21:22], null, s9, v25, v[12:13]
	v_add_nc_u32_e32 v30, 0x870, v28
	s_delay_alu instid0(VALU_DEP_4) | instskip(NEXT) | instid1(VALU_DEP_4)
	v_mad_co_u64_u32 v[25:26], null, s9, v26, v[18:19]
	v_add_co_u32 v15, vcc_lo, v0, v15
	s_delay_alu instid0(VALU_DEP_3)
	v_mad_co_u64_u32 v[26:27], null, s8, v30, 0
	s_wait_alu 0xfffd
	v_add_co_ci_u32_e32 v16, vcc_lo, v1, v16, vcc_lo
	v_mov_b32_e32 v12, v20
	v_mov_b32_e32 v24, v21
	v_mad_co_u64_u32 v[21:22], null, s8, v31, 0
	global_store_b64 v[15:16], v[13:14], off
	v_mad_co_u64_u32 v[28:29], null, s9, v29, v[12:13]
	v_lshlrev_b64_e32 v[13:14], 3, v[23:24]
	v_mov_b32_e32 v12, v27
	v_mov_b32_e32 v18, v25
	s_delay_alu instid0(VALU_DEP_2) | instskip(SKIP_4) | instid1(VALU_DEP_4)
	v_mad_co_u64_u32 v[15:16], null, s9, v30, v[12:13]
	v_mov_b32_e32 v20, v28
	v_mov_b32_e32 v12, v22
	v_add_co_u32 v13, vcc_lo, v0, v13
	v_lshlrev_b64_e32 v[16:17], 3, v[17:18]
	v_lshlrev_b64_e32 v[18:19], 3, v[19:20]
	v_mov_b32_e32 v27, v15
	s_delay_alu instid0(VALU_DEP_4)
	v_mad_co_u64_u32 v[22:23], null, s9, v31, v[12:13]
	s_wait_alu 0xfffd
	v_add_co_ci_u32_e32 v14, vcc_lo, v1, v14, vcc_lo
	v_add_co_u32 v15, vcc_lo, v0, v16
	s_wait_alu 0xfffd
	v_add_co_ci_u32_e32 v16, vcc_lo, v1, v17, vcc_lo
	v_lshlrev_b64_e32 v[23:24], 3, v[26:27]
	v_add_co_u32 v17, vcc_lo, v0, v18
	s_wait_alu 0xfffd
	v_add_co_ci_u32_e32 v18, vcc_lo, v1, v19, vcc_lo
	v_lshlrev_b64_e32 v[19:20], 3, v[21:22]
	s_delay_alu instid0(VALU_DEP_4) | instskip(SKIP_2) | instid1(VALU_DEP_3)
	v_add_co_u32 v21, vcc_lo, v0, v23
	s_wait_alu 0xfffd
	v_add_co_ci_u32_e32 v22, vcc_lo, v1, v24, vcc_lo
	v_add_co_u32 v0, vcc_lo, v0, v19
	s_wait_alu 0xfffd
	v_add_co_ci_u32_e32 v1, vcc_lo, v1, v20, vcc_lo
	s_clause 0x4
	global_store_b64 v[13:14], v[10:11], off
	global_store_b64 v[15:16], v[8:9], off
	;; [unrolled: 1-line block ×5, first 2 shown]
.LBB0_15:
	s_nop 0
	s_sendmsg sendmsg(MSG_DEALLOC_VGPRS)
	s_endpgm
	.section	.rodata,"a",@progbits
	.p2align	6, 0x0
	.amdhsa_kernel fft_rtc_back_len3240_factors_3_3_10_6_6_wgs_108_tpt_108_halfLds_sp_ip_CI_sbrr_dirReg
		.amdhsa_group_segment_fixed_size 0
		.amdhsa_private_segment_fixed_size 0
		.amdhsa_kernarg_size 88
		.amdhsa_user_sgpr_count 2
		.amdhsa_user_sgpr_dispatch_ptr 0
		.amdhsa_user_sgpr_queue_ptr 0
		.amdhsa_user_sgpr_kernarg_segment_ptr 1
		.amdhsa_user_sgpr_dispatch_id 0
		.amdhsa_user_sgpr_private_segment_size 0
		.amdhsa_wavefront_size32 1
		.amdhsa_uses_dynamic_stack 0
		.amdhsa_enable_private_segment 0
		.amdhsa_system_sgpr_workgroup_id_x 1
		.amdhsa_system_sgpr_workgroup_id_y 0
		.amdhsa_system_sgpr_workgroup_id_z 0
		.amdhsa_system_sgpr_workgroup_info 0
		.amdhsa_system_vgpr_workitem_id 0
		.amdhsa_next_free_vgpr 174
		.amdhsa_next_free_sgpr 35
		.amdhsa_reserve_vcc 1
		.amdhsa_float_round_mode_32 0
		.amdhsa_float_round_mode_16_64 0
		.amdhsa_float_denorm_mode_32 3
		.amdhsa_float_denorm_mode_16_64 3
		.amdhsa_fp16_overflow 0
		.amdhsa_workgroup_processor_mode 1
		.amdhsa_memory_ordered 1
		.amdhsa_forward_progress 0
		.amdhsa_round_robin_scheduling 0
		.amdhsa_exception_fp_ieee_invalid_op 0
		.amdhsa_exception_fp_denorm_src 0
		.amdhsa_exception_fp_ieee_div_zero 0
		.amdhsa_exception_fp_ieee_overflow 0
		.amdhsa_exception_fp_ieee_underflow 0
		.amdhsa_exception_fp_ieee_inexact 0
		.amdhsa_exception_int_div_zero 0
	.end_amdhsa_kernel
	.text
.Lfunc_end0:
	.size	fft_rtc_back_len3240_factors_3_3_10_6_6_wgs_108_tpt_108_halfLds_sp_ip_CI_sbrr_dirReg, .Lfunc_end0-fft_rtc_back_len3240_factors_3_3_10_6_6_wgs_108_tpt_108_halfLds_sp_ip_CI_sbrr_dirReg
                                        ; -- End function
	.section	.AMDGPU.csdata,"",@progbits
; Kernel info:
; codeLenInByte = 20140
; NumSgprs: 37
; NumVgprs: 174
; ScratchSize: 0
; MemoryBound: 0
; FloatMode: 240
; IeeeMode: 1
; LDSByteSize: 0 bytes/workgroup (compile time only)
; SGPRBlocks: 4
; VGPRBlocks: 21
; NumSGPRsForWavesPerEU: 37
; NumVGPRsForWavesPerEU: 174
; Occupancy: 8
; WaveLimiterHint : 1
; COMPUTE_PGM_RSRC2:SCRATCH_EN: 0
; COMPUTE_PGM_RSRC2:USER_SGPR: 2
; COMPUTE_PGM_RSRC2:TRAP_HANDLER: 0
; COMPUTE_PGM_RSRC2:TGID_X_EN: 1
; COMPUTE_PGM_RSRC2:TGID_Y_EN: 0
; COMPUTE_PGM_RSRC2:TGID_Z_EN: 0
; COMPUTE_PGM_RSRC2:TIDIG_COMP_CNT: 0
	.text
	.p2alignl 7, 3214868480
	.fill 96, 4, 3214868480
	.type	__hip_cuid_b51da956a5d206c,@object ; @__hip_cuid_b51da956a5d206c
	.section	.bss,"aw",@nobits
	.globl	__hip_cuid_b51da956a5d206c
__hip_cuid_b51da956a5d206c:
	.byte	0                               ; 0x0
	.size	__hip_cuid_b51da956a5d206c, 1

	.ident	"AMD clang version 19.0.0git (https://github.com/RadeonOpenCompute/llvm-project roc-6.4.0 25133 c7fe45cf4b819c5991fe208aaa96edf142730f1d)"
	.section	".note.GNU-stack","",@progbits
	.addrsig
	.addrsig_sym __hip_cuid_b51da956a5d206c
	.amdgpu_metadata
---
amdhsa.kernels:
  - .args:
      - .actual_access:  read_only
        .address_space:  global
        .offset:         0
        .size:           8
        .value_kind:     global_buffer
      - .offset:         8
        .size:           8
        .value_kind:     by_value
      - .actual_access:  read_only
        .address_space:  global
        .offset:         16
        .size:           8
        .value_kind:     global_buffer
      - .actual_access:  read_only
        .address_space:  global
        .offset:         24
        .size:           8
        .value_kind:     global_buffer
      - .offset:         32
        .size:           8
        .value_kind:     by_value
      - .actual_access:  read_only
        .address_space:  global
        .offset:         40
        .size:           8
        .value_kind:     global_buffer
      - .actual_access:  read_only
        .address_space:  global
        .offset:         48
        .size:           8
        .value_kind:     global_buffer
      - .offset:         56
        .size:           4
        .value_kind:     by_value
      - .actual_access:  read_only
        .address_space:  global
        .offset:         64
        .size:           8
        .value_kind:     global_buffer
      - .actual_access:  read_only
        .address_space:  global
        .offset:         72
        .size:           8
        .value_kind:     global_buffer
      - .address_space:  global
        .offset:         80
        .size:           8
        .value_kind:     global_buffer
    .group_segment_fixed_size: 0
    .kernarg_segment_align: 8
    .kernarg_segment_size: 88
    .language:       OpenCL C
    .language_version:
      - 2
      - 0
    .max_flat_workgroup_size: 108
    .name:           fft_rtc_back_len3240_factors_3_3_10_6_6_wgs_108_tpt_108_halfLds_sp_ip_CI_sbrr_dirReg
    .private_segment_fixed_size: 0
    .sgpr_count:     37
    .sgpr_spill_count: 0
    .symbol:         fft_rtc_back_len3240_factors_3_3_10_6_6_wgs_108_tpt_108_halfLds_sp_ip_CI_sbrr_dirReg.kd
    .uniform_work_group_size: 1
    .uses_dynamic_stack: false
    .vgpr_count:     174
    .vgpr_spill_count: 0
    .wavefront_size: 32
    .workgroup_processor_mode: 1
amdhsa.target:   amdgcn-amd-amdhsa--gfx1201
amdhsa.version:
  - 1
  - 2
...

	.end_amdgpu_metadata
